;; amdgpu-corpus repo=ROCm/rocBLAS kind=compiled arch=gfx1250 opt=O3
	.amdgcn_target "amdgcn-amd-amdhsa--gfx1250"
	.amdhsa_code_object_version 6
	.section	.text._ZL19rocblas_her2_kernelIlLi512EPK19rocblas_complex_numIfES3_PS1_EvbimT1_T2_lT_lS6_lS7_lT3_lS7_li,"axG",@progbits,_ZL19rocblas_her2_kernelIlLi512EPK19rocblas_complex_numIfES3_PS1_EvbimT1_T2_lT_lS6_lS7_lT3_lS7_li,comdat
	.globl	_ZL19rocblas_her2_kernelIlLi512EPK19rocblas_complex_numIfES3_PS1_EvbimT1_T2_lT_lS6_lS7_lT3_lS7_li ; -- Begin function _ZL19rocblas_her2_kernelIlLi512EPK19rocblas_complex_numIfES3_PS1_EvbimT1_T2_lT_lS6_lS7_lT3_lS7_li
	.p2align	8
	.type	_ZL19rocblas_her2_kernelIlLi512EPK19rocblas_complex_numIfES3_PS1_EvbimT1_T2_lT_lS6_lS7_lT3_lS7_li,@function
_ZL19rocblas_her2_kernelIlLi512EPK19rocblas_complex_numIfES3_PS1_EvbimT1_T2_lT_lS6_lS7_lT3_lS7_li: ; @_ZL19rocblas_her2_kernelIlLi512EPK19rocblas_complex_numIfES3_PS1_EvbimT1_T2_lT_lS6_lS7_lT3_lS7_li
; %bb.0:
	s_load_b512 s[4:19], s[0:1], 0x8
	s_wait_kmcnt 0x0
	s_load_b64 s[34:35], s[6:7], 0x0
	s_wait_kmcnt 0x0
	s_cmp_neq_f32 s34, 0
	s_cselect_b32 s2, -1, 0
	s_cmp_neq_f32 s35, 0
	s_cselect_b32 s3, -1, 0
	s_delay_alu instid0(SALU_CYCLE_1) | instskip(NEXT) | instid1(SALU_CYCLE_1)
	s_or_b32 s2, s2, s3
	s_and_not1_b32 vcc_lo, exec_lo, s2
	s_cbranch_vccnz .LBB0_11
; %bb.1:
	s_load_b32 s33, s[0:1], 0x78
	s_bfe_u32 s2, ttmp6, 0x40014
	s_lshr_b32 s3, ttmp7, 16
	s_add_co_i32 s2, s2, 1
	s_bfe_u32 s7, ttmp6, 0x40008
	s_mul_i32 s6, s3, s2
	s_getreg_b32 s2, hwreg(HW_REG_IB_STS2, 6, 4)
	s_add_co_i32 s7, s7, s6
	s_cmp_eq_u32 s2, 0
	s_cselect_b32 s6, s3, s7
	s_wait_kmcnt 0x0
	s_cmp_ge_u32 s6, s33
	s_cbranch_scc1 .LBB0_11
; %bb.2:
	s_clause 0x2
	s_load_b256 s[20:27], s[0:1], 0x48
	s_load_b64 s[36:37], s[0:1], 0x0
	s_load_b32 s3, s[0:1], 0x8c
	s_lshl_b64 s[10:11], s[10:11], 3
	s_lshl_b64 s[18:19], s[18:19], 3
	s_add_nc_u64 s[8:9], s[8:9], s[10:11]
	s_add_nc_u64 s[10:11], s[16:17], s[18:19]
	s_wait_kmcnt 0x0
	s_lshl_b64 s[26:27], s[26:27], 3
	s_bitcmp1_b32 s36, 0
	s_cselect_b32 vcc_lo, -1, 0
	s_bfe_u32 s7, ttmp6, 0x4000c
	s_and_b32 s28, ttmp6, 15
	s_add_co_i32 s7, s7, 1
	v_mov_b32_e32 v1, 0
	s_mul_i32 s7, ttmp9, s7
	s_and_b32 s3, s3, 0xffff
	s_add_co_i32 s28, s28, s7
	s_cmp_eq_u32 s2, 0
	s_mov_b32 s7, 0
	s_cselect_b32 s2, ttmp9, s28
	s_load_b128 s[28:31], s[0:1], 0x68
	v_mad_nc_u64_u32 v[14:15], s3, s2, v[0:1]
	s_wait_xcnt 0x0
	s_add_co_i32 s0, s37, -1
	s_delay_alu instid0(VALU_DEP_1) | instskip(NEXT) | instid1(VALU_DEP_2)
	v_not_b32_e32 v1, v15
	v_not_b32_e32 v0, v14
	s_delay_alu instid0(VALU_DEP_1) | instskip(NEXT) | instid1(VALU_DEP_1)
	v_add_nc_u64_e32 v[0:1], s[4:5], v[0:1]
	v_dual_cndmask_b32 v1, v1, v15 :: v_dual_cndmask_b32 v0, v0, v14
	s_delay_alu instid0(VALU_DEP_1) | instskip(NEXT) | instid1(VALU_DEP_1)
	v_lshlrev_b64_e32 v[2:3], 3, v[0:1]
	v_cvt_f64_u32_e32 v[4:5], v3
	s_delay_alu instid0(VALU_DEP_2) | instskip(NEXT) | instid1(VALU_DEP_1)
	v_or_b32_e32 v1, 1, v2
	v_cvt_f64_u32_e32 v[2:3], v1
	s_delay_alu instid0(VALU_DEP_3) | instskip(NEXT) | instid1(VALU_DEP_1)
	v_ldexp_f64 v[4:5], v[4:5], 32
	v_add_f64_e32 v[2:3], v[4:5], v[2:3]
	s_delay_alu instid0(VALU_DEP_1) | instskip(NEXT) | instid1(VALU_DEP_1)
	v_cmp_gt_f64_e64 s2, 0x10000000, v[2:3]
	v_cndmask_b32_e64 v1, 0, 0x100, s2
	s_delay_alu instid0(VALU_DEP_1) | instskip(SKIP_1) | instid1(VALU_DEP_2)
	v_ldexp_f64 v[2:3], v[2:3], v1
	v_cndmask_b32_e64 v1, 0, 0xffffff80, s2
	v_rsq_f64_e32 v[4:5], v[2:3]
	v_cmp_class_f64_e64 s2, v[2:3], 0x260
	s_delay_alu instid0(TRANS32_DEP_1) | instskip(SKIP_1) | instid1(VALU_DEP_1)
	v_mul_f64_e32 v[6:7], v[2:3], v[4:5]
	v_mul_f64_e32 v[4:5], 0.5, v[4:5]
	v_fma_f64 v[8:9], -v[4:5], v[6:7], 0.5
	s_delay_alu instid0(VALU_DEP_1) | instskip(SKIP_1) | instid1(VALU_DEP_2)
	v_fmac_f64_e32 v[6:7], v[6:7], v[8:9]
	v_fmac_f64_e32 v[4:5], v[4:5], v[8:9]
	v_fma_f64 v[8:9], -v[6:7], v[6:7], v[2:3]
	s_delay_alu instid0(VALU_DEP_1) | instskip(NEXT) | instid1(VALU_DEP_1)
	v_fmac_f64_e32 v[6:7], v[8:9], v[4:5]
	v_fma_f64 v[8:9], -v[6:7], v[6:7], v[2:3]
	s_delay_alu instid0(VALU_DEP_1) | instskip(NEXT) | instid1(VALU_DEP_1)
	v_fmac_f64_e32 v[6:7], v[8:9], v[4:5]
	v_ldexp_f64 v[4:5], v[6:7], v1
	s_delay_alu instid0(VALU_DEP_1) | instskip(SKIP_1) | instid1(VALU_DEP_1)
	v_dual_cndmask_b32 v3, v5, v3, s2 :: v_dual_cndmask_b32 v2, v4, v2, s2
	s_add_nc_u64 s[2:3], s[24:25], s[26:27]
	v_add_f64_e32 v[2:3], -1.0, v[2:3]
	s_delay_alu instid0(VALU_DEP_1) | instskip(NEXT) | instid1(VALU_DEP_1)
	v_cvt_i32_f64_e32 v1, v[2:3]
	v_lshrrev_b32_e32 v2, 31, v1
	s_delay_alu instid0(VALU_DEP_1) | instskip(NEXT) | instid1(VALU_DEP_1)
	v_add_nc_u32_e32 v1, v1, v2
	v_ashrrev_i32_e32 v16, 1, v1
	s_delay_alu instid0(VALU_DEP_1) | instskip(NEXT) | instid1(VALU_DEP_1)
	v_dual_add_nc_u32 v2, 1, v16 :: v_dual_ashrrev_i32 v17, 31, v16
	v_ashrrev_i32_e32 v3, 31, v2
	s_delay_alu instid0(VALU_DEP_1) | instskip(NEXT) | instid1(VALU_DEP_1)
	v_mul_u64_e32 v[2:3], v[2:3], v[16:17]
	v_alignbit_b32 v1, v3, v2, 1
	s_delay_alu instid0(VALU_DEP_1) | instskip(NEXT) | instid1(VALU_DEP_1)
	v_dual_sub_nc_u32 v17, v0, v1 :: v_dual_sub_nc_u32 v0, s0, v16
	v_dual_cndmask_b32 v18, v0, v16 :: v_dual_sub_nc_u32 v1, s0, v17
	v_cmp_le_i32_e64 s0, v16, v17
	s_delay_alu instid0(VALU_DEP_2) | instskip(SKIP_3) | instid1(VALU_DEP_2)
	v_dual_cndmask_b32 v0, v1, v17 :: v_dual_ashrrev_i32 v19, 31, v18
	v_cmp_gt_u64_e32 vcc_lo, s[4:5], v[14:15]
	s_mov_b32 s4, s35
	s_mov_b32 s5, s34
	v_ashrrev_i32_e32 v1, 31, v0
	v_mul_u64_e32 v[2:3], s[20:21], v[18:19]
	v_mul_u64_e32 v[4:5], s[12:13], v[18:19]
	s_wait_kmcnt 0x0
	v_mul_u64_e32 v[12:13], s[28:29], v[18:19]
	v_cmp_eq_u32_e64 s1, v0, v18
	v_mul_u64_e32 v[6:7], s[28:29], v[0:1]
	v_mul_u64_e32 v[8:9], s[12:13], v[0:1]
	;; [unrolled: 1-line block ×3, first 2 shown]
	s_branch .LBB0_4
.LBB0_3:                                ;   in Loop: Header=BB0_4 Depth=1
	s_wait_xcnt 0x0
	s_or_b32 exec_lo, exec_lo, s20
	s_add_co_i32 s6, s6, 0x10000
	s_delay_alu instid0(SALU_CYCLE_1)
	s_cmp_lt_u32 s6, s33
	s_cbranch_scc0 .LBB0_11
.LBB0_4:                                ; =>This Inner Loop Header: Depth=1
	s_and_saveexec_b32 s20, vcc_lo
	s_cbranch_execz .LBB0_3
; %bb.5:                                ;   in Loop: Header=BB0_4 Depth=1
	s_mul_u64 s[12:13], s[30:31], s[6:7]
	s_mul_u64 s[16:17], s[14:15], s[6:7]
	;; [unrolled: 1-line block ×3, first 2 shown]
	s_lshl_b64 s[12:13], s[12:13], 3
	s_lshl_b64 s[16:17], s[16:17], 3
	;; [unrolled: 1-line block ×3, first 2 shown]
	s_add_nc_u64 s[12:13], s[2:3], s[12:13]
	s_add_nc_u64 s[16:17], s[8:9], s[16:17]
	;; [unrolled: 1-line block ×3, first 2 shown]
	s_and_saveexec_b32 s21, s0
	s_delay_alu instid0(SALU_CYCLE_1)
	s_xor_b32 s21, exec_lo, s21
	s_cbranch_execz .LBB0_9
; %bb.6:                                ;   in Loop: Header=BB0_4 Depth=1
	s_and_saveexec_b32 s24, s1
	s_cbranch_execz .LBB0_8
; %bb.7:                                ;   in Loop: Header=BB0_4 Depth=1
	s_delay_alu instid0(VALU_DEP_2) | instskip(NEXT) | instid1(VALU_DEP_2)
	v_lshl_add_u64 v[14:15], v[8:9], 3, s[16:17]
	v_lshl_add_u64 v[16:17], v[10:11], 3, s[18:19]
	;; [unrolled: 1-line block ×3, first 2 shown]
	v_mov_b64_e32 v[20:21], s[34:35]
	v_mov_b64_e32 v[22:23], s[4:5]
	global_load_b64 v[14:15], v[14:15], off
	global_load_b64 v[16:17], v[16:17], off
	v_lshl_add_u64 v[18:19], v[0:1], 3, v[18:19]
	global_load_b32 v30, v[18:19], off
	s_wait_loadcnt 0x2
	v_pk_mul_f32 v[24:25], v[20:21], v[14:15] op_sel:[0,1]
	s_delay_alu instid0(VALU_DEP_1) | instskip(SKIP_4) | instid1(VALU_DEP_3)
	v_pk_fma_f32 v[26:27], v[22:23], v[14:15], v[24:25] op_sel_hi:[1,0,1] neg_lo:[0,0,1] neg_hi:[0,0,1]
	v_pk_fma_f32 v[22:23], v[22:23], v[14:15], v[24:25] op_sel_hi:[1,0,1]
	s_wait_loadcnt 0x1
	v_pk_mul_f32 v[24:25], v[20:21], v[16:17]
	v_pk_mul_f32 v[20:21], v[20:21], v[16:17] op_sel:[0,1] op_sel_hi:[1,0]
	v_dual_mov_b32 v28, v27 :: v_dual_mov_b32 v29, v22
	s_delay_alu instid0(VALU_DEP_3) | instskip(NEXT) | instid1(VALU_DEP_3)
	v_dual_add_f32 v24, v24, v25 :: v_dual_mov_b32 v23, v27
	v_pk_add_f32 v[20:21], v[20:21], v[20:21] op_sel:[0,1] op_sel_hi:[0,1] neg_lo:[0,1] neg_hi:[0,1]
	s_delay_alu instid0(VALU_DEP_3) | instskip(NEXT) | instid1(VALU_DEP_3)
	v_pk_mul_f32 v[28:29], v[16:17], v[28:29]
	v_pk_mul_f32 v[24:25], v[14:15], v[24:25] op_sel_hi:[1,0]
	s_delay_alu instid0(VALU_DEP_2) | instskip(NEXT) | instid1(VALU_DEP_2)
	v_add_f32_e32 v27, v28, v29
	v_pk_fma_f32 v[28:29], v[14:15], v[20:21], v[24:25] op_sel:[1,0,0] op_sel_hi:[0,1,1] neg_lo:[0,0,1] neg_hi:[0,0,1]
	s_wait_xcnt 0x2
	v_pk_fma_f32 v[14:15], v[14:15], v[20:21], v[24:25] op_sel:[1,0,0] op_sel_hi:[0,1,1]
	s_delay_alu instid0(VALU_DEP_2) | instskip(SKIP_1) | instid1(VALU_DEP_1)
	v_dual_mov_b32 v15, v29 :: v_dual_mul_f32 v26, v16, v22
	s_wait_xcnt 0x1
	v_pk_fma_f32 v[16:17], v[16:17], v[22:23], v[26:27] op_sel_hi:[1,1,0] neg_lo:[1,0,0] neg_hi:[1,0,0]
	s_wait_loadcnt 0x0
	v_add_f32_e32 v16, v30, v27
	s_delay_alu instid0(VALU_DEP_1)
	v_pk_add_f32 v[14:15], v[16:17], v[14:15]
	global_store_b64 v[18:19], v[14:15], off
.LBB0_8:                                ;   in Loop: Header=BB0_4 Depth=1
	s_wait_xcnt 0x0
	s_or_b32 exec_lo, exec_lo, s24
.LBB0_9:                                ;   in Loop: Header=BB0_4 Depth=1
	s_and_not1_saveexec_b32 s21, s21
	s_cbranch_execz .LBB0_3
; %bb.10:                               ;   in Loop: Header=BB0_4 Depth=1
	s_delay_alu instid0(VALU_DEP_2) | instskip(NEXT) | instid1(VALU_DEP_2)
	v_lshl_add_u64 v[14:15], v[8:9], 3, s[16:17]
	v_lshl_add_u64 v[16:17], v[10:11], 3, s[18:19]
	v_mov_b64_e32 v[26:27], s[34:35]
	v_mov_b64_e32 v[28:29], s[4:5]
	global_load_b64 v[18:19], v[14:15], off
	global_load_b64 v[20:21], v[16:17], off
	s_wait_xcnt 0x1
	v_lshl_add_u64 v[14:15], v[2:3], 3, s[18:19]
	s_wait_xcnt 0x0
	v_lshl_add_u64 v[16:17], v[4:5], 3, s[16:17]
	global_load_b64 v[22:23], v[14:15], off
	global_load_b64 v[24:25], v[16:17], off
	s_wait_xcnt 0x1
	v_lshl_add_u64 v[14:15], v[12:13], 3, s[12:13]
	s_delay_alu instid0(VALU_DEP_1)
	v_lshl_add_u64 v[14:15], v[0:1], 3, v[14:15]
	global_load_b64 v[16:17], v[14:15], off
	s_wait_loadcnt 0x4
	v_pk_mul_f32 v[30:31], v[26:27], v[18:19]
	s_wait_loadcnt 0x3
	v_pk_mul_f32 v[32:33], v[26:27], v[20:21]
	v_pk_mul_f32 v[18:19], v[28:29], v[18:19]
	v_pk_mul_f32 v[20:21], v[26:27], v[20:21] op_sel:[0,1] op_sel_hi:[1,0]
	v_pk_add_f32 v[26:27], v[30:31], v[30:31] op_sel:[0,1] op_sel_hi:[0,1] neg_lo:[0,1] neg_hi:[0,1]
	s_delay_alu instid0(VALU_DEP_3) | instskip(NEXT) | instid1(VALU_DEP_3)
	v_dual_add_f32 v28, v32, v33 :: v_dual_add_f32 v18, v18, v19
	v_pk_add_f32 v[20:21], v[20:21], v[20:21] op_sel:[0,1] op_sel_hi:[0,1] neg_lo:[0,1] neg_hi:[0,1]
	s_wait_loadcnt 0x2
	s_delay_alu instid0(VALU_DEP_3) | instskip(SKIP_2) | instid1(VALU_DEP_2)
	v_pk_mul_f32 v[26:27], v[22:23], v[26:27]
	s_wait_loadcnt 0x1
	v_pk_mul_f32 v[28:29], v[24:25], v[28:29] op_sel_hi:[1,0]
	v_pk_fma_f32 v[30:31], v[22:23], v[18:19], v[26:27] op_sel:[1,0,0] op_sel_hi:[0,0,1] neg_lo:[0,0,1] neg_hi:[0,0,1]
	s_delay_alu instid0(VALU_DEP_2) | instskip(SKIP_2) | instid1(VALU_DEP_3)
	v_pk_fma_f32 v[32:33], v[24:25], v[20:21], v[28:29] op_sel:[1,0,0] op_sel_hi:[0,1,1] neg_lo:[0,0,1] neg_hi:[0,0,1]
	v_pk_fma_f32 v[18:19], v[22:23], v[18:19], v[26:27] op_sel:[1,0,0] op_sel_hi:[0,0,1]
	v_pk_fma_f32 v[20:21], v[24:25], v[20:21], v[28:29] op_sel:[1,0,0] op_sel_hi:[0,1,1]
	v_dual_mov_b32 v19, v31 :: v_dual_mov_b32 v21, v33
	s_delay_alu instid0(VALU_DEP_1) | instskip(SKIP_1) | instid1(VALU_DEP_1)
	v_pk_add_f32 v[18:19], v[18:19], v[20:21]
	s_wait_loadcnt 0x0
	v_pk_add_f32 v[16:17], v[16:17], v[18:19]
	global_store_b64 v[14:15], v[16:17], off
	s_branch .LBB0_3
.LBB0_11:
	s_endpgm
	.section	.rodata,"a",@progbits
	.p2align	6, 0x0
	.amdhsa_kernel _ZL19rocblas_her2_kernelIlLi512EPK19rocblas_complex_numIfES3_PS1_EvbimT1_T2_lT_lS6_lS7_lT3_lS7_li
		.amdhsa_group_segment_fixed_size 0
		.amdhsa_private_segment_fixed_size 0
		.amdhsa_kernarg_size 384
		.amdhsa_user_sgpr_count 2
		.amdhsa_user_sgpr_dispatch_ptr 0
		.amdhsa_user_sgpr_queue_ptr 0
		.amdhsa_user_sgpr_kernarg_segment_ptr 1
		.amdhsa_user_sgpr_dispatch_id 0
		.amdhsa_user_sgpr_kernarg_preload_length 0
		.amdhsa_user_sgpr_kernarg_preload_offset 0
		.amdhsa_user_sgpr_private_segment_size 0
		.amdhsa_wavefront_size32 1
		.amdhsa_uses_dynamic_stack 0
		.amdhsa_enable_private_segment 0
		.amdhsa_system_sgpr_workgroup_id_x 1
		.amdhsa_system_sgpr_workgroup_id_y 0
		.amdhsa_system_sgpr_workgroup_id_z 1
		.amdhsa_system_sgpr_workgroup_info 0
		.amdhsa_system_vgpr_workitem_id 0
		.amdhsa_next_free_vgpr 34
		.amdhsa_next_free_sgpr 38
		.amdhsa_named_barrier_count 0
		.amdhsa_reserve_vcc 1
		.amdhsa_float_round_mode_32 0
		.amdhsa_float_round_mode_16_64 0
		.amdhsa_float_denorm_mode_32 3
		.amdhsa_float_denorm_mode_16_64 3
		.amdhsa_fp16_overflow 0
		.amdhsa_memory_ordered 1
		.amdhsa_forward_progress 1
		.amdhsa_inst_pref_size 11
		.amdhsa_round_robin_scheduling 0
		.amdhsa_exception_fp_ieee_invalid_op 0
		.amdhsa_exception_fp_denorm_src 0
		.amdhsa_exception_fp_ieee_div_zero 0
		.amdhsa_exception_fp_ieee_overflow 0
		.amdhsa_exception_fp_ieee_underflow 0
		.amdhsa_exception_fp_ieee_inexact 0
		.amdhsa_exception_int_div_zero 0
	.end_amdhsa_kernel
	.section	.text._ZL19rocblas_her2_kernelIlLi512EPK19rocblas_complex_numIfES3_PS1_EvbimT1_T2_lT_lS6_lS7_lT3_lS7_li,"axG",@progbits,_ZL19rocblas_her2_kernelIlLi512EPK19rocblas_complex_numIfES3_PS1_EvbimT1_T2_lT_lS6_lS7_lT3_lS7_li,comdat
.Lfunc_end0:
	.size	_ZL19rocblas_her2_kernelIlLi512EPK19rocblas_complex_numIfES3_PS1_EvbimT1_T2_lT_lS6_lS7_lT3_lS7_li, .Lfunc_end0-_ZL19rocblas_her2_kernelIlLi512EPK19rocblas_complex_numIfES3_PS1_EvbimT1_T2_lT_lS6_lS7_lT3_lS7_li
                                        ; -- End function
	.set _ZL19rocblas_her2_kernelIlLi512EPK19rocblas_complex_numIfES3_PS1_EvbimT1_T2_lT_lS6_lS7_lT3_lS7_li.num_vgpr, 34
	.set _ZL19rocblas_her2_kernelIlLi512EPK19rocblas_complex_numIfES3_PS1_EvbimT1_T2_lT_lS6_lS7_lT3_lS7_li.num_agpr, 0
	.set _ZL19rocblas_her2_kernelIlLi512EPK19rocblas_complex_numIfES3_PS1_EvbimT1_T2_lT_lS6_lS7_lT3_lS7_li.numbered_sgpr, 38
	.set _ZL19rocblas_her2_kernelIlLi512EPK19rocblas_complex_numIfES3_PS1_EvbimT1_T2_lT_lS6_lS7_lT3_lS7_li.num_named_barrier, 0
	.set _ZL19rocblas_her2_kernelIlLi512EPK19rocblas_complex_numIfES3_PS1_EvbimT1_T2_lT_lS6_lS7_lT3_lS7_li.private_seg_size, 0
	.set _ZL19rocblas_her2_kernelIlLi512EPK19rocblas_complex_numIfES3_PS1_EvbimT1_T2_lT_lS6_lS7_lT3_lS7_li.uses_vcc, 1
	.set _ZL19rocblas_her2_kernelIlLi512EPK19rocblas_complex_numIfES3_PS1_EvbimT1_T2_lT_lS6_lS7_lT3_lS7_li.uses_flat_scratch, 0
	.set _ZL19rocblas_her2_kernelIlLi512EPK19rocblas_complex_numIfES3_PS1_EvbimT1_T2_lT_lS6_lS7_lT3_lS7_li.has_dyn_sized_stack, 0
	.set _ZL19rocblas_her2_kernelIlLi512EPK19rocblas_complex_numIfES3_PS1_EvbimT1_T2_lT_lS6_lS7_lT3_lS7_li.has_recursion, 0
	.set _ZL19rocblas_her2_kernelIlLi512EPK19rocblas_complex_numIfES3_PS1_EvbimT1_T2_lT_lS6_lS7_lT3_lS7_li.has_indirect_call, 0
	.section	.AMDGPU.csdata,"",@progbits
; Kernel info:
; codeLenInByte = 1348
; TotalNumSgprs: 40
; NumVgprs: 34
; ScratchSize: 0
; MemoryBound: 0
; FloatMode: 240
; IeeeMode: 1
; LDSByteSize: 0 bytes/workgroup (compile time only)
; SGPRBlocks: 0
; VGPRBlocks: 2
; NumSGPRsForWavesPerEU: 40
; NumVGPRsForWavesPerEU: 34
; NamedBarCnt: 0
; Occupancy: 16
; WaveLimiterHint : 1
; COMPUTE_PGM_RSRC2:SCRATCH_EN: 0
; COMPUTE_PGM_RSRC2:USER_SGPR: 2
; COMPUTE_PGM_RSRC2:TRAP_HANDLER: 0
; COMPUTE_PGM_RSRC2:TGID_X_EN: 1
; COMPUTE_PGM_RSRC2:TGID_Y_EN: 0
; COMPUTE_PGM_RSRC2:TGID_Z_EN: 1
; COMPUTE_PGM_RSRC2:TIDIG_COMP_CNT: 0
	.section	.text._ZL19rocblas_her2_kernelIlLi512E19rocblas_complex_numIfEPKS1_PS1_EvbimT1_T2_lT_lS6_lS7_lT3_lS7_li,"axG",@progbits,_ZL19rocblas_her2_kernelIlLi512E19rocblas_complex_numIfEPKS1_PS1_EvbimT1_T2_lT_lS6_lS7_lT3_lS7_li,comdat
	.globl	_ZL19rocblas_her2_kernelIlLi512E19rocblas_complex_numIfEPKS1_PS1_EvbimT1_T2_lT_lS6_lS7_lT3_lS7_li ; -- Begin function _ZL19rocblas_her2_kernelIlLi512E19rocblas_complex_numIfEPKS1_PS1_EvbimT1_T2_lT_lS6_lS7_lT3_lS7_li
	.p2align	8
	.type	_ZL19rocblas_her2_kernelIlLi512E19rocblas_complex_numIfEPKS1_PS1_EvbimT1_T2_lT_lS6_lS7_lT3_lS7_li,@function
_ZL19rocblas_her2_kernelIlLi512E19rocblas_complex_numIfEPKS1_PS1_EvbimT1_T2_lT_lS6_lS7_lT3_lS7_li: ; @_ZL19rocblas_her2_kernelIlLi512E19rocblas_complex_numIfEPKS1_PS1_EvbimT1_T2_lT_lS6_lS7_lT3_lS7_li
; %bb.0:
	s_load_b64 s[2:3], s[0:1], 0x10
	s_wait_kmcnt 0x0
	s_cmp_neq_f32 s2, 0
	s_cselect_b32 s4, -1, 0
	s_cmp_neq_f32 s3, 0
	s_cselect_b32 s5, -1, 0
	s_delay_alu instid0(SALU_CYCLE_1) | instskip(NEXT) | instid1(SALU_CYCLE_1)
	s_or_b32 s4, s4, s5
	s_and_not1_b32 vcc_lo, exec_lo, s4
	s_cbranch_vccnz .LBB1_11
; %bb.1:
	s_load_b32 s33, s[0:1], 0x78
	s_bfe_u32 s4, ttmp6, 0x40014
	s_lshr_b32 s5, ttmp7, 16
	s_add_co_i32 s4, s4, 1
	s_bfe_u32 s6, ttmp6, 0x40008
	s_mul_i32 s4, s5, s4
	s_getreg_b32 s35, hwreg(HW_REG_IB_STS2, 6, 4)
	s_add_co_i32 s6, s6, s4
	s_cmp_eq_u32 s35, 0
	s_cselect_b32 s34, s5, s6
	s_wait_kmcnt 0x0
	s_cmp_ge_u32 s34, s33
	s_cbranch_scc1 .LBB1_11
; %bb.2:
	s_clause 0x3
	s_load_b256 s[20:27], s[0:1], 0x58
	s_load_b512 s[4:19], s[0:1], 0x18
	s_load_b128 s[28:31], s[0:1], 0x0
	s_load_b32 s38, s[0:1], 0x8c
	s_wait_kmcnt 0x0
	s_lshl_b64 s[22:23], s[22:23], 3
	s_lshl_b64 s[36:37], s[6:7], 3
	;; [unrolled: 1-line block ×3, first 2 shown]
	s_bitcmp1_b32 s28, 0
	s_add_nc_u64 s[4:5], s[4:5], s[36:37]
	s_cselect_b32 vcc_lo, -1, 0
	s_bfe_u32 s0, ttmp6, 0x4000c
	s_and_b32 s1, ttmp6, 15
	s_add_co_i32 s0, s0, 1
	v_mov_b32_e32 v1, 0
	s_mul_i32 s0, ttmp9, s0
	s_and_b32 s6, s38, 0xffff
	s_add_co_i32 s1, s1, s0
	s_cmp_eq_u32 s35, 0
	s_mov_b32 s35, 0
	s_cselect_b32 s0, ttmp9, s1
	s_delay_alu instid0(SALU_CYCLE_1) | instskip(SKIP_1) | instid1(VALU_DEP_1)
	v_mad_nc_u64_u32 v[14:15], s6, s0, v[0:1]
	s_add_nc_u64 s[6:7], s[20:21], s[22:23]
	v_not_b32_e32 v1, v15
	s_delay_alu instid0(VALU_DEP_2) | instskip(NEXT) | instid1(VALU_DEP_1)
	v_not_b32_e32 v0, v14
	v_add_nc_u64_e32 v[0:1], s[30:31], v[0:1]
	s_delay_alu instid0(VALU_DEP_1) | instskip(NEXT) | instid1(VALU_DEP_1)
	v_dual_cndmask_b32 v1, v1, v15 :: v_dual_cndmask_b32 v0, v0, v14
	v_lshlrev_b64_e32 v[2:3], 3, v[0:1]
	s_delay_alu instid0(VALU_DEP_1) | instskip(NEXT) | instid1(VALU_DEP_2)
	v_cvt_f64_u32_e32 v[4:5], v3
	v_or_b32_e32 v1, 1, v2
	s_delay_alu instid0(VALU_DEP_1) | instskip(NEXT) | instid1(VALU_DEP_3)
	v_cvt_f64_u32_e32 v[2:3], v1
	v_ldexp_f64 v[4:5], v[4:5], 32
	s_delay_alu instid0(VALU_DEP_1) | instskip(NEXT) | instid1(VALU_DEP_1)
	v_add_f64_e32 v[2:3], v[4:5], v[2:3]
	v_cmp_gt_f64_e64 s0, 0x10000000, v[2:3]
	s_delay_alu instid0(VALU_DEP_1) | instskip(NEXT) | instid1(VALU_DEP_1)
	v_cndmask_b32_e64 v1, 0, 0x100, s0
	v_ldexp_f64 v[2:3], v[2:3], v1
	v_cndmask_b32_e64 v1, 0, 0xffffff80, s0
	s_delay_alu instid0(VALU_DEP_2) | instskip(SKIP_1) | instid1(TRANS32_DEP_1)
	v_rsq_f64_e32 v[4:5], v[2:3]
	v_cmp_class_f64_e64 s0, v[2:3], 0x260
	v_mul_f64_e32 v[6:7], v[2:3], v[4:5]
	v_mul_f64_e32 v[4:5], 0.5, v[4:5]
	s_delay_alu instid0(VALU_DEP_1) | instskip(NEXT) | instid1(VALU_DEP_1)
	v_fma_f64 v[8:9], -v[4:5], v[6:7], 0.5
	v_fmac_f64_e32 v[6:7], v[6:7], v[8:9]
	v_fmac_f64_e32 v[4:5], v[4:5], v[8:9]
	s_delay_alu instid0(VALU_DEP_2) | instskip(NEXT) | instid1(VALU_DEP_1)
	v_fma_f64 v[8:9], -v[6:7], v[6:7], v[2:3]
	v_fmac_f64_e32 v[6:7], v[8:9], v[4:5]
	s_delay_alu instid0(VALU_DEP_1) | instskip(NEXT) | instid1(VALU_DEP_1)
	v_fma_f64 v[8:9], -v[6:7], v[6:7], v[2:3]
	v_fmac_f64_e32 v[6:7], v[8:9], v[4:5]
	s_delay_alu instid0(VALU_DEP_1) | instskip(NEXT) | instid1(VALU_DEP_1)
	v_ldexp_f64 v[4:5], v[6:7], v1
	v_dual_cndmask_b32 v3, v5, v3, s0 :: v_dual_cndmask_b32 v2, v4, v2, s0
	s_add_co_i32 s0, s29, -1
	s_delay_alu instid0(VALU_DEP_1) | instskip(NEXT) | instid1(VALU_DEP_1)
	v_add_f64_e32 v[2:3], -1.0, v[2:3]
	v_cvt_i32_f64_e32 v1, v[2:3]
	s_delay_alu instid0(VALU_DEP_1) | instskip(NEXT) | instid1(VALU_DEP_1)
	v_lshrrev_b32_e32 v2, 31, v1
	v_add_nc_u32_e32 v1, v1, v2
	s_delay_alu instid0(VALU_DEP_1) | instskip(NEXT) | instid1(VALU_DEP_1)
	v_ashrrev_i32_e32 v16, 1, v1
	v_dual_add_nc_u32 v2, 1, v16 :: v_dual_ashrrev_i32 v17, 31, v16
	s_delay_alu instid0(VALU_DEP_1) | instskip(NEXT) | instid1(VALU_DEP_1)
	v_ashrrev_i32_e32 v3, 31, v2
	v_mul_u64_e32 v[2:3], v[2:3], v[16:17]
	s_delay_alu instid0(VALU_DEP_1) | instskip(NEXT) | instid1(VALU_DEP_1)
	v_alignbit_b32 v1, v3, v2, 1
	v_dual_sub_nc_u32 v17, v0, v1 :: v_dual_sub_nc_u32 v0, s0, v16
	s_delay_alu instid0(VALU_DEP_1) | instskip(SKIP_1) | instid1(VALU_DEP_2)
	v_dual_cndmask_b32 v18, v0, v16 :: v_dual_sub_nc_u32 v1, s0, v17
	v_cmp_le_i32_e64 s0, v16, v17
	v_dual_cndmask_b32 v0, v1, v17 :: v_dual_ashrrev_i32 v19, 31, v18
	v_cmp_gt_u64_e32 vcc_lo, s[30:31], v[14:15]
	s_delay_alu instid0(VALU_DEP_2) | instskip(NEXT) | instid1(VALU_DEP_3)
	v_ashrrev_i32_e32 v1, 31, v0
	v_mul_u64_e32 v[2:3], s[16:17], v[18:19]
	v_mul_u64_e32 v[4:5], s[8:9], v[18:19]
	;; [unrolled: 1-line block ×3, first 2 shown]
	v_cmp_eq_u32_e64 s1, v0, v18
	v_mul_u64_e32 v[6:7], s[24:25], v[0:1]
	v_mul_u64_e32 v[8:9], s[8:9], v[0:1]
	;; [unrolled: 1-line block ×3, first 2 shown]
	s_add_nc_u64 s[8:9], s[12:13], s[14:15]
	s_mov_b32 s12, s3
	s_mov_b32 s13, s2
	s_branch .LBB1_4
.LBB1_3:                                ;   in Loop: Header=BB1_4 Depth=1
	s_wait_xcnt 0x0
	s_or_b32 exec_lo, exec_lo, s22
	s_add_co_i32 s34, s34, 0x10000
	s_delay_alu instid0(SALU_CYCLE_1)
	s_cmp_lt_u32 s34, s33
	s_cbranch_scc0 .LBB1_11
.LBB1_4:                                ; =>This Inner Loop Header: Depth=1
	s_and_saveexec_b32 s22, vcc_lo
	s_cbranch_execz .LBB1_3
; %bb.5:                                ;   in Loop: Header=BB1_4 Depth=1
	s_mul_u64 s[14:15], s[26:27], s[34:35]
	s_mul_u64 s[16:17], s[10:11], s[34:35]
	;; [unrolled: 1-line block ×3, first 2 shown]
	s_lshl_b64 s[14:15], s[14:15], 3
	s_lshl_b64 s[16:17], s[16:17], 3
	;; [unrolled: 1-line block ×3, first 2 shown]
	s_add_nc_u64 s[14:15], s[6:7], s[14:15]
	s_add_nc_u64 s[16:17], s[4:5], s[16:17]
	;; [unrolled: 1-line block ×3, first 2 shown]
	s_and_saveexec_b32 s23, s0
	s_delay_alu instid0(SALU_CYCLE_1)
	s_xor_b32 s23, exec_lo, s23
	s_cbranch_execz .LBB1_9
; %bb.6:                                ;   in Loop: Header=BB1_4 Depth=1
	s_and_saveexec_b32 s24, s1
	s_cbranch_execz .LBB1_8
; %bb.7:                                ;   in Loop: Header=BB1_4 Depth=1
	s_delay_alu instid0(VALU_DEP_2) | instskip(NEXT) | instid1(VALU_DEP_2)
	v_lshl_add_u64 v[14:15], v[8:9], 3, s[16:17]
	v_lshl_add_u64 v[16:17], v[10:11], 3, s[20:21]
	;; [unrolled: 1-line block ×3, first 2 shown]
	v_mov_b64_e32 v[20:21], s[2:3]
	v_mov_b64_e32 v[22:23], s[12:13]
	global_load_b64 v[14:15], v[14:15], off
	global_load_b64 v[16:17], v[16:17], off
	v_lshl_add_u64 v[18:19], v[0:1], 3, v[18:19]
	global_load_b32 v30, v[18:19], off
	s_wait_loadcnt 0x2
	v_pk_mul_f32 v[24:25], v[20:21], v[14:15] op_sel:[0,1]
	s_delay_alu instid0(VALU_DEP_1) | instskip(SKIP_4) | instid1(VALU_DEP_3)
	v_pk_fma_f32 v[26:27], v[22:23], v[14:15], v[24:25] op_sel_hi:[1,0,1] neg_lo:[0,0,1] neg_hi:[0,0,1]
	v_pk_fma_f32 v[22:23], v[22:23], v[14:15], v[24:25] op_sel_hi:[1,0,1]
	s_wait_loadcnt 0x1
	v_pk_mul_f32 v[24:25], v[20:21], v[16:17]
	v_pk_mul_f32 v[20:21], v[20:21], v[16:17] op_sel:[0,1] op_sel_hi:[1,0]
	v_dual_mov_b32 v28, v27 :: v_dual_mov_b32 v29, v22
	s_delay_alu instid0(VALU_DEP_3) | instskip(NEXT) | instid1(VALU_DEP_3)
	v_dual_add_f32 v24, v24, v25 :: v_dual_mov_b32 v23, v27
	v_pk_add_f32 v[20:21], v[20:21], v[20:21] op_sel:[0,1] op_sel_hi:[0,1] neg_lo:[0,1] neg_hi:[0,1]
	s_delay_alu instid0(VALU_DEP_3) | instskip(NEXT) | instid1(VALU_DEP_3)
	v_pk_mul_f32 v[28:29], v[16:17], v[28:29]
	v_pk_mul_f32 v[24:25], v[14:15], v[24:25] op_sel_hi:[1,0]
	s_delay_alu instid0(VALU_DEP_2) | instskip(NEXT) | instid1(VALU_DEP_2)
	v_add_f32_e32 v27, v28, v29
	v_pk_fma_f32 v[28:29], v[14:15], v[20:21], v[24:25] op_sel:[1,0,0] op_sel_hi:[0,1,1] neg_lo:[0,0,1] neg_hi:[0,0,1]
	s_wait_xcnt 0x2
	v_pk_fma_f32 v[14:15], v[14:15], v[20:21], v[24:25] op_sel:[1,0,0] op_sel_hi:[0,1,1]
	s_delay_alu instid0(VALU_DEP_2) | instskip(SKIP_1) | instid1(VALU_DEP_1)
	v_dual_mov_b32 v15, v29 :: v_dual_mul_f32 v26, v16, v22
	s_wait_xcnt 0x1
	v_pk_fma_f32 v[16:17], v[16:17], v[22:23], v[26:27] op_sel_hi:[1,1,0] neg_lo:[1,0,0] neg_hi:[1,0,0]
	s_wait_loadcnt 0x0
	v_add_f32_e32 v16, v30, v27
	s_delay_alu instid0(VALU_DEP_1)
	v_pk_add_f32 v[14:15], v[16:17], v[14:15]
	global_store_b64 v[18:19], v[14:15], off
.LBB1_8:                                ;   in Loop: Header=BB1_4 Depth=1
	s_wait_xcnt 0x0
	s_or_b32 exec_lo, exec_lo, s24
.LBB1_9:                                ;   in Loop: Header=BB1_4 Depth=1
	s_and_not1_saveexec_b32 s23, s23
	s_cbranch_execz .LBB1_3
; %bb.10:                               ;   in Loop: Header=BB1_4 Depth=1
	s_delay_alu instid0(VALU_DEP_2) | instskip(NEXT) | instid1(VALU_DEP_2)
	v_lshl_add_u64 v[14:15], v[8:9], 3, s[16:17]
	v_lshl_add_u64 v[16:17], v[10:11], 3, s[20:21]
	v_mov_b64_e32 v[26:27], s[2:3]
	v_mov_b64_e32 v[28:29], s[12:13]
	global_load_b64 v[18:19], v[14:15], off
	global_load_b64 v[20:21], v[16:17], off
	s_wait_xcnt 0x1
	v_lshl_add_u64 v[14:15], v[2:3], 3, s[20:21]
	s_wait_xcnt 0x0
	v_lshl_add_u64 v[16:17], v[4:5], 3, s[16:17]
	global_load_b64 v[22:23], v[14:15], off
	global_load_b64 v[24:25], v[16:17], off
	s_wait_xcnt 0x1
	v_lshl_add_u64 v[14:15], v[12:13], 3, s[14:15]
	s_delay_alu instid0(VALU_DEP_1)
	v_lshl_add_u64 v[14:15], v[0:1], 3, v[14:15]
	global_load_b64 v[16:17], v[14:15], off
	s_wait_loadcnt 0x4
	v_pk_mul_f32 v[30:31], v[26:27], v[18:19]
	s_wait_loadcnt 0x3
	v_pk_mul_f32 v[32:33], v[26:27], v[20:21]
	v_pk_mul_f32 v[18:19], v[28:29], v[18:19]
	v_pk_mul_f32 v[20:21], v[26:27], v[20:21] op_sel:[0,1] op_sel_hi:[1,0]
	v_pk_add_f32 v[26:27], v[30:31], v[30:31] op_sel:[0,1] op_sel_hi:[0,1] neg_lo:[0,1] neg_hi:[0,1]
	s_delay_alu instid0(VALU_DEP_3) | instskip(NEXT) | instid1(VALU_DEP_3)
	v_dual_add_f32 v28, v32, v33 :: v_dual_add_f32 v18, v18, v19
	v_pk_add_f32 v[20:21], v[20:21], v[20:21] op_sel:[0,1] op_sel_hi:[0,1] neg_lo:[0,1] neg_hi:[0,1]
	s_wait_loadcnt 0x2
	s_delay_alu instid0(VALU_DEP_3) | instskip(SKIP_2) | instid1(VALU_DEP_2)
	v_pk_mul_f32 v[26:27], v[22:23], v[26:27]
	s_wait_loadcnt 0x1
	v_pk_mul_f32 v[28:29], v[24:25], v[28:29] op_sel_hi:[1,0]
	v_pk_fma_f32 v[30:31], v[22:23], v[18:19], v[26:27] op_sel:[1,0,0] op_sel_hi:[0,0,1] neg_lo:[0,0,1] neg_hi:[0,0,1]
	s_delay_alu instid0(VALU_DEP_2) | instskip(SKIP_2) | instid1(VALU_DEP_3)
	v_pk_fma_f32 v[32:33], v[24:25], v[20:21], v[28:29] op_sel:[1,0,0] op_sel_hi:[0,1,1] neg_lo:[0,0,1] neg_hi:[0,0,1]
	v_pk_fma_f32 v[18:19], v[22:23], v[18:19], v[26:27] op_sel:[1,0,0] op_sel_hi:[0,0,1]
	v_pk_fma_f32 v[20:21], v[24:25], v[20:21], v[28:29] op_sel:[1,0,0] op_sel_hi:[0,1,1]
	v_dual_mov_b32 v19, v31 :: v_dual_mov_b32 v21, v33
	s_delay_alu instid0(VALU_DEP_1) | instskip(SKIP_1) | instid1(VALU_DEP_1)
	v_pk_add_f32 v[18:19], v[18:19], v[20:21]
	s_wait_loadcnt 0x0
	v_pk_add_f32 v[16:17], v[16:17], v[18:19]
	global_store_b64 v[14:15], v[16:17], off
	s_branch .LBB1_3
.LBB1_11:
	s_endpgm
	.section	.rodata,"a",@progbits
	.p2align	6, 0x0
	.amdhsa_kernel _ZL19rocblas_her2_kernelIlLi512E19rocblas_complex_numIfEPKS1_PS1_EvbimT1_T2_lT_lS6_lS7_lT3_lS7_li
		.amdhsa_group_segment_fixed_size 0
		.amdhsa_private_segment_fixed_size 0
		.amdhsa_kernarg_size 384
		.amdhsa_user_sgpr_count 2
		.amdhsa_user_sgpr_dispatch_ptr 0
		.amdhsa_user_sgpr_queue_ptr 0
		.amdhsa_user_sgpr_kernarg_segment_ptr 1
		.amdhsa_user_sgpr_dispatch_id 0
		.amdhsa_user_sgpr_kernarg_preload_length 0
		.amdhsa_user_sgpr_kernarg_preload_offset 0
		.amdhsa_user_sgpr_private_segment_size 0
		.amdhsa_wavefront_size32 1
		.amdhsa_uses_dynamic_stack 0
		.amdhsa_enable_private_segment 0
		.amdhsa_system_sgpr_workgroup_id_x 1
		.amdhsa_system_sgpr_workgroup_id_y 0
		.amdhsa_system_sgpr_workgroup_id_z 1
		.amdhsa_system_sgpr_workgroup_info 0
		.amdhsa_system_vgpr_workitem_id 0
		.amdhsa_next_free_vgpr 34
		.amdhsa_next_free_sgpr 39
		.amdhsa_named_barrier_count 0
		.amdhsa_reserve_vcc 1
		.amdhsa_float_round_mode_32 0
		.amdhsa_float_round_mode_16_64 0
		.amdhsa_float_denorm_mode_32 3
		.amdhsa_float_denorm_mode_16_64 3
		.amdhsa_fp16_overflow 0
		.amdhsa_memory_ordered 1
		.amdhsa_forward_progress 1
		.amdhsa_inst_pref_size 11
		.amdhsa_round_robin_scheduling 0
		.amdhsa_exception_fp_ieee_invalid_op 0
		.amdhsa_exception_fp_denorm_src 0
		.amdhsa_exception_fp_ieee_div_zero 0
		.amdhsa_exception_fp_ieee_overflow 0
		.amdhsa_exception_fp_ieee_underflow 0
		.amdhsa_exception_fp_ieee_inexact 0
		.amdhsa_exception_int_div_zero 0
	.end_amdhsa_kernel
	.section	.text._ZL19rocblas_her2_kernelIlLi512E19rocblas_complex_numIfEPKS1_PS1_EvbimT1_T2_lT_lS6_lS7_lT3_lS7_li,"axG",@progbits,_ZL19rocblas_her2_kernelIlLi512E19rocblas_complex_numIfEPKS1_PS1_EvbimT1_T2_lT_lS6_lS7_lT3_lS7_li,comdat
.Lfunc_end1:
	.size	_ZL19rocblas_her2_kernelIlLi512E19rocblas_complex_numIfEPKS1_PS1_EvbimT1_T2_lT_lS6_lS7_lT3_lS7_li, .Lfunc_end1-_ZL19rocblas_her2_kernelIlLi512E19rocblas_complex_numIfEPKS1_PS1_EvbimT1_T2_lT_lS6_lS7_lT3_lS7_li
                                        ; -- End function
	.set _ZL19rocblas_her2_kernelIlLi512E19rocblas_complex_numIfEPKS1_PS1_EvbimT1_T2_lT_lS6_lS7_lT3_lS7_li.num_vgpr, 34
	.set _ZL19rocblas_her2_kernelIlLi512E19rocblas_complex_numIfEPKS1_PS1_EvbimT1_T2_lT_lS6_lS7_lT3_lS7_li.num_agpr, 0
	.set _ZL19rocblas_her2_kernelIlLi512E19rocblas_complex_numIfEPKS1_PS1_EvbimT1_T2_lT_lS6_lS7_lT3_lS7_li.numbered_sgpr, 39
	.set _ZL19rocblas_her2_kernelIlLi512E19rocblas_complex_numIfEPKS1_PS1_EvbimT1_T2_lT_lS6_lS7_lT3_lS7_li.num_named_barrier, 0
	.set _ZL19rocblas_her2_kernelIlLi512E19rocblas_complex_numIfEPKS1_PS1_EvbimT1_T2_lT_lS6_lS7_lT3_lS7_li.private_seg_size, 0
	.set _ZL19rocblas_her2_kernelIlLi512E19rocblas_complex_numIfEPKS1_PS1_EvbimT1_T2_lT_lS6_lS7_lT3_lS7_li.uses_vcc, 1
	.set _ZL19rocblas_her2_kernelIlLi512E19rocblas_complex_numIfEPKS1_PS1_EvbimT1_T2_lT_lS6_lS7_lT3_lS7_li.uses_flat_scratch, 0
	.set _ZL19rocblas_her2_kernelIlLi512E19rocblas_complex_numIfEPKS1_PS1_EvbimT1_T2_lT_lS6_lS7_lT3_lS7_li.has_dyn_sized_stack, 0
	.set _ZL19rocblas_her2_kernelIlLi512E19rocblas_complex_numIfEPKS1_PS1_EvbimT1_T2_lT_lS6_lS7_lT3_lS7_li.has_recursion, 0
	.set _ZL19rocblas_her2_kernelIlLi512E19rocblas_complex_numIfEPKS1_PS1_EvbimT1_T2_lT_lS6_lS7_lT3_lS7_li.has_indirect_call, 0
	.section	.AMDGPU.csdata,"",@progbits
; Kernel info:
; codeLenInByte = 1332
; TotalNumSgprs: 41
; NumVgprs: 34
; ScratchSize: 0
; MemoryBound: 0
; FloatMode: 240
; IeeeMode: 1
; LDSByteSize: 0 bytes/workgroup (compile time only)
; SGPRBlocks: 0
; VGPRBlocks: 2
; NumSGPRsForWavesPerEU: 41
; NumVGPRsForWavesPerEU: 34
; NamedBarCnt: 0
; Occupancy: 16
; WaveLimiterHint : 1
; COMPUTE_PGM_RSRC2:SCRATCH_EN: 0
; COMPUTE_PGM_RSRC2:USER_SGPR: 2
; COMPUTE_PGM_RSRC2:TRAP_HANDLER: 0
; COMPUTE_PGM_RSRC2:TGID_X_EN: 1
; COMPUTE_PGM_RSRC2:TGID_Y_EN: 0
; COMPUTE_PGM_RSRC2:TGID_Z_EN: 1
; COMPUTE_PGM_RSRC2:TIDIG_COMP_CNT: 0
	.section	.text._ZL19rocblas_her2_kernelIlLi512EPK19rocblas_complex_numIdES3_PS1_EvbimT1_T2_lT_lS6_lS7_lT3_lS7_li,"axG",@progbits,_ZL19rocblas_her2_kernelIlLi512EPK19rocblas_complex_numIdES3_PS1_EvbimT1_T2_lT_lS6_lS7_lT3_lS7_li,comdat
	.globl	_ZL19rocblas_her2_kernelIlLi512EPK19rocblas_complex_numIdES3_PS1_EvbimT1_T2_lT_lS6_lS7_lT3_lS7_li ; -- Begin function _ZL19rocblas_her2_kernelIlLi512EPK19rocblas_complex_numIdES3_PS1_EvbimT1_T2_lT_lS6_lS7_lT3_lS7_li
	.p2align	8
	.type	_ZL19rocblas_her2_kernelIlLi512EPK19rocblas_complex_numIdES3_PS1_EvbimT1_T2_lT_lS6_lS7_lT3_lS7_li,@function
_ZL19rocblas_her2_kernelIlLi512EPK19rocblas_complex_numIdES3_PS1_EvbimT1_T2_lT_lS6_lS7_lT3_lS7_li: ; @_ZL19rocblas_her2_kernelIlLi512EPK19rocblas_complex_numIdES3_PS1_EvbimT1_T2_lT_lS6_lS7_lT3_lS7_li
; %bb.0:
	s_load_b512 s[4:19], s[0:1], 0x8
	s_wait_kmcnt 0x0
	s_load_b128 s[28:31], s[6:7], 0x0
	s_wait_kmcnt 0x0
	v_cmp_neq_f64_e64 s2, s[28:29], 0
	v_cmp_neq_f64_e64 s3, s[30:31], 0
	s_or_b32 s2, s2, s3
	s_delay_alu instid0(SALU_CYCLE_1)
	s_and_not1_b32 vcc_lo, exec_lo, s2
	s_cbranch_vccnz .LBB2_11
; %bb.1:
	s_load_b32 s33, s[0:1], 0x78
	s_bfe_u32 s2, ttmp6, 0x40014
	s_lshr_b32 s3, ttmp7, 16
	s_add_co_i32 s2, s2, 1
	s_bfe_u32 s7, ttmp6, 0x40008
	s_mul_i32 s6, s3, s2
	s_getreg_b32 s2, hwreg(HW_REG_IB_STS2, 6, 4)
	s_add_co_i32 s7, s7, s6
	s_cmp_eq_u32 s2, 0
	s_cselect_b32 s6, s3, s7
	s_mov_b32 s7, 0
	s_wait_kmcnt 0x0
	s_cmp_ge_u32 s6, s33
	s_cbranch_scc1 .LBB2_11
; %bb.2:
	s_clause 0x2
	s_load_b256 s[20:27], s[0:1], 0x48
	s_load_b64 s[34:35], s[0:1], 0x0
	s_load_b32 s3, s[0:1], 0x8c
	s_lshl_b64 s[10:11], s[10:11], 4
	s_lshl_b64 s[18:19], s[18:19], 4
	s_wait_kmcnt 0x0
	s_lshl_b64 s[26:27], s[26:27], 4
	s_bitcmp1_b32 s34, 0
	s_cselect_b32 vcc_lo, -1, 0
	s_bfe_u32 s34, ttmp6, 0x4000c
	s_and_b32 s36, ttmp6, 15
	s_add_co_i32 s34, s34, 1
	v_mov_b32_e32 v1, 0
	s_mul_i32 s34, ttmp9, s34
	s_and_b32 s3, s3, 0xffff
	s_add_co_i32 s36, s36, s34
	s_cmp_eq_u32 s2, 0
	s_cselect_b32 s2, ttmp9, s36
	s_load_b128 s[36:39], s[0:1], 0x68
	v_mad_nc_u64_u32 v[14:15], s3, s2, v[0:1]
	s_wait_xcnt 0x0
	s_add_co_i32 s0, s35, -1
	s_delay_alu instid0(VALU_DEP_1) | instskip(NEXT) | instid1(VALU_DEP_2)
	v_not_b32_e32 v1, v15
	v_not_b32_e32 v0, v14
	s_delay_alu instid0(VALU_DEP_1) | instskip(NEXT) | instid1(VALU_DEP_1)
	v_add_nc_u64_e32 v[0:1], s[4:5], v[0:1]
	v_dual_cndmask_b32 v1, v1, v15 :: v_dual_cndmask_b32 v0, v0, v14
	s_delay_alu instid0(VALU_DEP_1) | instskip(NEXT) | instid1(VALU_DEP_1)
	v_lshlrev_b64_e32 v[2:3], 3, v[0:1]
	v_cvt_f64_u32_e32 v[4:5], v3
	s_delay_alu instid0(VALU_DEP_2) | instskip(NEXT) | instid1(VALU_DEP_1)
	v_or_b32_e32 v1, 1, v2
	v_cvt_f64_u32_e32 v[2:3], v1
	s_delay_alu instid0(VALU_DEP_3) | instskip(NEXT) | instid1(VALU_DEP_1)
	v_ldexp_f64 v[4:5], v[4:5], 32
	v_add_f64_e32 v[2:3], v[4:5], v[2:3]
	s_delay_alu instid0(VALU_DEP_1) | instskip(NEXT) | instid1(VALU_DEP_1)
	v_cmp_gt_f64_e64 s2, 0x10000000, v[2:3]
	v_cndmask_b32_e64 v1, 0, 0x100, s2
	s_delay_alu instid0(VALU_DEP_1) | instskip(SKIP_1) | instid1(VALU_DEP_2)
	v_ldexp_f64 v[2:3], v[2:3], v1
	v_cndmask_b32_e64 v1, 0, 0xffffff80, s2
	v_rsq_f64_e32 v[4:5], v[2:3]
	v_cmp_class_f64_e64 s2, v[2:3], 0x260
	s_delay_alu instid0(TRANS32_DEP_1) | instskip(SKIP_1) | instid1(VALU_DEP_1)
	v_mul_f64_e32 v[6:7], v[2:3], v[4:5]
	v_mul_f64_e32 v[4:5], 0.5, v[4:5]
	v_fma_f64 v[8:9], -v[4:5], v[6:7], 0.5
	s_delay_alu instid0(VALU_DEP_1) | instskip(SKIP_1) | instid1(VALU_DEP_2)
	v_fmac_f64_e32 v[6:7], v[6:7], v[8:9]
	v_fmac_f64_e32 v[4:5], v[4:5], v[8:9]
	v_fma_f64 v[8:9], -v[6:7], v[6:7], v[2:3]
	s_delay_alu instid0(VALU_DEP_1) | instskip(NEXT) | instid1(VALU_DEP_1)
	v_fmac_f64_e32 v[6:7], v[8:9], v[4:5]
	v_fma_f64 v[8:9], -v[6:7], v[6:7], v[2:3]
	s_delay_alu instid0(VALU_DEP_1) | instskip(NEXT) | instid1(VALU_DEP_1)
	v_fmac_f64_e32 v[6:7], v[8:9], v[4:5]
	v_ldexp_f64 v[4:5], v[6:7], v1
	s_delay_alu instid0(VALU_DEP_1) | instskip(SKIP_1) | instid1(VALU_DEP_1)
	v_dual_cndmask_b32 v3, v5, v3, s2 :: v_dual_cndmask_b32 v2, v4, v2, s2
	s_add_nc_u64 s[2:3], s[24:25], s[26:27]
	v_add_f64_e32 v[2:3], -1.0, v[2:3]
	s_delay_alu instid0(VALU_DEP_1) | instskip(NEXT) | instid1(VALU_DEP_1)
	v_cvt_i32_f64_e32 v1, v[2:3]
	v_lshrrev_b32_e32 v2, 31, v1
	s_delay_alu instid0(VALU_DEP_1) | instskip(NEXT) | instid1(VALU_DEP_1)
	v_add_nc_u32_e32 v1, v1, v2
	v_ashrrev_i32_e32 v16, 1, v1
	s_delay_alu instid0(VALU_DEP_1) | instskip(NEXT) | instid1(VALU_DEP_1)
	v_dual_add_nc_u32 v2, 1, v16 :: v_dual_ashrrev_i32 v17, 31, v16
	v_ashrrev_i32_e32 v3, 31, v2
	s_delay_alu instid0(VALU_DEP_1) | instskip(NEXT) | instid1(VALU_DEP_1)
	v_mul_u64_e32 v[2:3], v[2:3], v[16:17]
	v_alignbit_b32 v1, v3, v2, 1
	s_delay_alu instid0(VALU_DEP_1) | instskip(NEXT) | instid1(VALU_DEP_1)
	v_dual_sub_nc_u32 v17, v0, v1 :: v_dual_sub_nc_u32 v0, s0, v16
	v_dual_cndmask_b32 v18, v0, v16 :: v_dual_sub_nc_u32 v1, s0, v17
	v_cmp_le_i32_e64 s0, v16, v17
	s_delay_alu instid0(VALU_DEP_2) | instskip(SKIP_3) | instid1(VALU_DEP_2)
	v_dual_cndmask_b32 v0, v1, v17 :: v_dual_ashrrev_i32 v19, 31, v18
	v_cmp_gt_u64_e32 vcc_lo, s[4:5], v[14:15]
	s_add_nc_u64 s[4:5], s[8:9], s[10:11]
	s_add_nc_u64 s[8:9], s[16:17], s[18:19]
	v_ashrrev_i32_e32 v1, 31, v0
	v_mul_u64_e32 v[2:3], s[20:21], v[18:19]
	v_mul_u64_e32 v[4:5], s[12:13], v[18:19]
	s_wait_kmcnt 0x0
	v_mul_u64_e32 v[12:13], s[36:37], v[18:19]
	v_cmp_eq_u32_e64 s1, v0, v18
	v_mul_u64_e32 v[6:7], s[36:37], v[0:1]
	v_mul_u64_e32 v[8:9], s[12:13], v[0:1]
	;; [unrolled: 1-line block ×3, first 2 shown]
	s_branch .LBB2_4
.LBB2_3:                                ;   in Loop: Header=BB2_4 Depth=1
	s_wait_xcnt 0x0
	s_or_b32 exec_lo, exec_lo, s18
	s_add_co_i32 s6, s6, 0x10000
	s_delay_alu instid0(SALU_CYCLE_1)
	s_cmp_lt_u32 s6, s33
	s_cbranch_scc0 .LBB2_11
.LBB2_4:                                ; =>This Inner Loop Header: Depth=1
	s_and_saveexec_b32 s18, vcc_lo
	s_cbranch_execz .LBB2_3
; %bb.5:                                ;   in Loop: Header=BB2_4 Depth=1
	s_mul_u64 s[10:11], s[38:39], s[6:7]
	s_mul_u64 s[12:13], s[14:15], s[6:7]
	;; [unrolled: 1-line block ×3, first 2 shown]
	s_lshl_b64 s[10:11], s[10:11], 4
	s_lshl_b64 s[12:13], s[12:13], 4
	;; [unrolled: 1-line block ×3, first 2 shown]
	s_add_nc_u64 s[10:11], s[2:3], s[10:11]
	s_add_nc_u64 s[12:13], s[4:5], s[12:13]
	;; [unrolled: 1-line block ×3, first 2 shown]
	s_and_saveexec_b32 s19, s0
	s_delay_alu instid0(SALU_CYCLE_1)
	s_xor_b32 s19, exec_lo, s19
	s_cbranch_execz .LBB2_9
; %bb.6:                                ;   in Loop: Header=BB2_4 Depth=1
	s_and_saveexec_b32 s20, s1
	s_cbranch_execz .LBB2_8
; %bb.7:                                ;   in Loop: Header=BB2_4 Depth=1
	s_delay_alu instid0(VALU_DEP_2) | instskip(NEXT) | instid1(VALU_DEP_2)
	v_lshl_add_u64 v[14:15], v[8:9], 4, s[12:13]
	v_lshl_add_u64 v[18:19], v[10:11], 4, s[16:17]
	v_lshl_add_u64 v[22:23], v[6:7], 4, s[10:11]
	global_load_b128 v[14:17], v[14:15], off
	global_load_b128 v[18:21], v[18:19], off
	v_lshl_add_u64 v[22:23], v[0:1], 4, v[22:23]
	global_load_b64 v[24:25], v[22:23], off
	s_wait_loadcnt 0x2
	v_mul_f64_e32 v[26:27], s[28:29], v[16:17]
	v_mul_f64_e32 v[28:29], s[30:31], v[16:17]
	s_wait_loadcnt 0x1
	v_mul_f64_e32 v[30:31], s[30:31], v[18:19]
	v_mul_f64_e32 v[32:33], s[30:31], v[20:21]
	s_delay_alu instid0(VALU_DEP_4) | instskip(NEXT) | instid1(VALU_DEP_4)
	v_fmac_f64_e32 v[26:27], s[30:31], v[14:15]
	v_fma_f64 v[28:29], s[28:29], v[14:15], -v[28:29]
	s_delay_alu instid0(VALU_DEP_4) | instskip(NEXT) | instid1(VALU_DEP_4)
	v_fma_f64 v[30:31], s[28:29], v[20:21], -v[30:31]
	v_fmac_f64_e32 v[32:33], s[28:29], v[18:19]
	s_delay_alu instid0(VALU_DEP_4) | instskip(NEXT) | instid1(VALU_DEP_4)
	v_mul_f64_e32 v[34:35], v[20:21], v[26:27]
	v_mul_f64_e32 v[20:21], v[20:21], v[28:29]
	s_delay_alu instid0(VALU_DEP_4) | instskip(NEXT) | instid1(VALU_DEP_4)
	v_mul_f64_e32 v[36:37], v[16:17], v[30:31]
	v_mul_f64_e32 v[16:17], v[16:17], v[32:33]
	s_delay_alu instid0(VALU_DEP_4) | instskip(SKIP_1) | instid1(VALU_DEP_4)
	v_fmac_f64_e32 v[34:35], v[18:19], v[28:29]
	s_wait_xcnt 0x1
	v_fma_f64 v[18:19], v[18:19], v[26:27], -v[20:21]
	s_delay_alu instid0(VALU_DEP_4) | instskip(NEXT) | instid1(VALU_DEP_4)
	v_fmac_f64_e32 v[36:37], v[14:15], v[32:33]
	v_fma_f64 v[16:17], v[14:15], v[30:31], -v[16:17]
	s_wait_loadcnt 0x0
	s_delay_alu instid0(VALU_DEP_4) | instskip(NEXT) | instid1(VALU_DEP_2)
	v_add_f64_e32 v[20:21], v[24:25], v[34:35]
	v_add_f64_e32 v[16:17], v[18:19], v[16:17]
	s_delay_alu instid0(VALU_DEP_2)
	v_add_f64_e32 v[14:15], v[20:21], v[36:37]
	global_store_b128 v[22:23], v[14:17], off
.LBB2_8:                                ;   in Loop: Header=BB2_4 Depth=1
	s_wait_xcnt 0x0
	s_or_b32 exec_lo, exec_lo, s20
.LBB2_9:                                ;   in Loop: Header=BB2_4 Depth=1
	s_and_not1_saveexec_b32 s19, s19
	s_cbranch_execz .LBB2_3
; %bb.10:                               ;   in Loop: Header=BB2_4 Depth=1
	s_delay_alu instid0(VALU_DEP_2) | instskip(NEXT) | instid1(VALU_DEP_2)
	v_lshl_add_u64 v[22:23], v[8:9], 4, s[12:13]
	v_lshl_add_u64 v[24:25], v[10:11], 4, s[16:17]
	;; [unrolled: 1-line block ×4, first 2 shown]
	global_load_b128 v[14:17], v[22:23], off
	s_clause 0x1
	global_load_b128 v[18:21], v[24:25], off
	global_load_b128 v[22:25], v[30:31], off
	;; [unrolled: 1-line block ×3, first 2 shown]
	s_wait_xcnt 0x1
	v_lshl_add_u64 v[30:31], v[12:13], 4, s[10:11]
	s_delay_alu instid0(VALU_DEP_1)
	v_lshl_add_u64 v[34:35], v[0:1], 4, v[30:31]
	global_load_b128 v[30:33], v[34:35], off
	s_wait_loadcnt 0x4
	v_mul_f64_e32 v[36:37], s[28:29], v[16:17]
	v_mul_f64_e32 v[16:17], s[30:31], v[16:17]
	s_wait_loadcnt 0x3
	v_mul_f64_e32 v[38:39], s[30:31], v[18:19]
	v_mul_f64_e32 v[40:41], s[30:31], v[20:21]
	s_delay_alu instid0(VALU_DEP_4) | instskip(NEXT) | instid1(VALU_DEP_4)
	v_fmac_f64_e32 v[36:37], s[30:31], v[14:15]
	v_fma_f64 v[14:15], s[28:29], v[14:15], -v[16:17]
	s_delay_alu instid0(VALU_DEP_4) | instskip(NEXT) | instid1(VALU_DEP_4)
	v_fma_f64 v[16:17], s[28:29], v[20:21], -v[38:39]
	v_fmac_f64_e32 v[40:41], s[28:29], v[18:19]
	s_wait_loadcnt 0x2
	s_delay_alu instid0(VALU_DEP_4) | instskip(NEXT) | instid1(VALU_DEP_4)
	v_mul_f64_e32 v[18:19], v[24:25], v[36:37]
	v_mul_f64_e32 v[20:21], v[24:25], v[14:15]
	s_wait_loadcnt 0x1
	s_delay_alu instid0(VALU_DEP_4) | instskip(NEXT) | instid1(VALU_DEP_4)
	v_mul_f64_e32 v[24:25], v[28:29], v[16:17]
	v_mul_f64_e32 v[28:29], v[28:29], v[40:41]
	s_delay_alu instid0(VALU_DEP_4) | instskip(NEXT) | instid1(VALU_DEP_4)
	v_fmac_f64_e32 v[18:19], v[22:23], v[14:15]
	v_fma_f64 v[14:15], v[22:23], v[36:37], -v[20:21]
	s_delay_alu instid0(VALU_DEP_4) | instskip(NEXT) | instid1(VALU_DEP_4)
	v_fmac_f64_e32 v[24:25], v[26:27], v[40:41]
	v_fma_f64 v[16:17], v[26:27], v[16:17], -v[28:29]
	s_delay_alu instid0(VALU_DEP_2) | instskip(NEXT) | instid1(VALU_DEP_2)
	v_add_f64_e32 v[18:19], v[18:19], v[24:25]
	v_add_f64_e32 v[16:17], v[14:15], v[16:17]
	s_wait_loadcnt 0x0
	s_delay_alu instid0(VALU_DEP_2) | instskip(NEXT) | instid1(VALU_DEP_2)
	v_add_f64_e32 v[14:15], v[30:31], v[18:19]
	v_add_f64_e32 v[16:17], v[32:33], v[16:17]
	global_store_b128 v[34:35], v[14:17], off
	s_branch .LBB2_3
.LBB2_11:
	s_endpgm
	.section	.rodata,"a",@progbits
	.p2align	6, 0x0
	.amdhsa_kernel _ZL19rocblas_her2_kernelIlLi512EPK19rocblas_complex_numIdES3_PS1_EvbimT1_T2_lT_lS6_lS7_lT3_lS7_li
		.amdhsa_group_segment_fixed_size 0
		.amdhsa_private_segment_fixed_size 0
		.amdhsa_kernarg_size 384
		.amdhsa_user_sgpr_count 2
		.amdhsa_user_sgpr_dispatch_ptr 0
		.amdhsa_user_sgpr_queue_ptr 0
		.amdhsa_user_sgpr_kernarg_segment_ptr 1
		.amdhsa_user_sgpr_dispatch_id 0
		.amdhsa_user_sgpr_kernarg_preload_length 0
		.amdhsa_user_sgpr_kernarg_preload_offset 0
		.amdhsa_user_sgpr_private_segment_size 0
		.amdhsa_wavefront_size32 1
		.amdhsa_uses_dynamic_stack 0
		.amdhsa_enable_private_segment 0
		.amdhsa_system_sgpr_workgroup_id_x 1
		.amdhsa_system_sgpr_workgroup_id_y 0
		.amdhsa_system_sgpr_workgroup_id_z 1
		.amdhsa_system_sgpr_workgroup_info 0
		.amdhsa_system_vgpr_workitem_id 0
		.amdhsa_next_free_vgpr 42
		.amdhsa_next_free_sgpr 40
		.amdhsa_named_barrier_count 0
		.amdhsa_reserve_vcc 1
		.amdhsa_float_round_mode_32 0
		.amdhsa_float_round_mode_16_64 0
		.amdhsa_float_denorm_mode_32 3
		.amdhsa_float_denorm_mode_16_64 3
		.amdhsa_fp16_overflow 0
		.amdhsa_memory_ordered 1
		.amdhsa_forward_progress 1
		.amdhsa_inst_pref_size 10
		.amdhsa_round_robin_scheduling 0
		.amdhsa_exception_fp_ieee_invalid_op 0
		.amdhsa_exception_fp_denorm_src 0
		.amdhsa_exception_fp_ieee_div_zero 0
		.amdhsa_exception_fp_ieee_overflow 0
		.amdhsa_exception_fp_ieee_underflow 0
		.amdhsa_exception_fp_ieee_inexact 0
		.amdhsa_exception_int_div_zero 0
	.end_amdhsa_kernel
	.section	.text._ZL19rocblas_her2_kernelIlLi512EPK19rocblas_complex_numIdES3_PS1_EvbimT1_T2_lT_lS6_lS7_lT3_lS7_li,"axG",@progbits,_ZL19rocblas_her2_kernelIlLi512EPK19rocblas_complex_numIdES3_PS1_EvbimT1_T2_lT_lS6_lS7_lT3_lS7_li,comdat
.Lfunc_end2:
	.size	_ZL19rocblas_her2_kernelIlLi512EPK19rocblas_complex_numIdES3_PS1_EvbimT1_T2_lT_lS6_lS7_lT3_lS7_li, .Lfunc_end2-_ZL19rocblas_her2_kernelIlLi512EPK19rocblas_complex_numIdES3_PS1_EvbimT1_T2_lT_lS6_lS7_lT3_lS7_li
                                        ; -- End function
	.set _ZL19rocblas_her2_kernelIlLi512EPK19rocblas_complex_numIdES3_PS1_EvbimT1_T2_lT_lS6_lS7_lT3_lS7_li.num_vgpr, 42
	.set _ZL19rocblas_her2_kernelIlLi512EPK19rocblas_complex_numIdES3_PS1_EvbimT1_T2_lT_lS6_lS7_lT3_lS7_li.num_agpr, 0
	.set _ZL19rocblas_her2_kernelIlLi512EPK19rocblas_complex_numIdES3_PS1_EvbimT1_T2_lT_lS6_lS7_lT3_lS7_li.numbered_sgpr, 40
	.set _ZL19rocblas_her2_kernelIlLi512EPK19rocblas_complex_numIdES3_PS1_EvbimT1_T2_lT_lS6_lS7_lT3_lS7_li.num_named_barrier, 0
	.set _ZL19rocblas_her2_kernelIlLi512EPK19rocblas_complex_numIdES3_PS1_EvbimT1_T2_lT_lS6_lS7_lT3_lS7_li.private_seg_size, 0
	.set _ZL19rocblas_her2_kernelIlLi512EPK19rocblas_complex_numIdES3_PS1_EvbimT1_T2_lT_lS6_lS7_lT3_lS7_li.uses_vcc, 1
	.set _ZL19rocblas_her2_kernelIlLi512EPK19rocblas_complex_numIdES3_PS1_EvbimT1_T2_lT_lS6_lS7_lT3_lS7_li.uses_flat_scratch, 0
	.set _ZL19rocblas_her2_kernelIlLi512EPK19rocblas_complex_numIdES3_PS1_EvbimT1_T2_lT_lS6_lS7_lT3_lS7_li.has_dyn_sized_stack, 0
	.set _ZL19rocblas_her2_kernelIlLi512EPK19rocblas_complex_numIdES3_PS1_EvbimT1_T2_lT_lS6_lS7_lT3_lS7_li.has_recursion, 0
	.set _ZL19rocblas_her2_kernelIlLi512EPK19rocblas_complex_numIdES3_PS1_EvbimT1_T2_lT_lS6_lS7_lT3_lS7_li.has_indirect_call, 0
	.section	.AMDGPU.csdata,"",@progbits
; Kernel info:
; codeLenInByte = 1264
; TotalNumSgprs: 42
; NumVgprs: 42
; ScratchSize: 0
; MemoryBound: 0
; FloatMode: 240
; IeeeMode: 1
; LDSByteSize: 0 bytes/workgroup (compile time only)
; SGPRBlocks: 0
; VGPRBlocks: 2
; NumSGPRsForWavesPerEU: 42
; NumVGPRsForWavesPerEU: 42
; NamedBarCnt: 0
; Occupancy: 16
; WaveLimiterHint : 1
; COMPUTE_PGM_RSRC2:SCRATCH_EN: 0
; COMPUTE_PGM_RSRC2:USER_SGPR: 2
; COMPUTE_PGM_RSRC2:TRAP_HANDLER: 0
; COMPUTE_PGM_RSRC2:TGID_X_EN: 1
; COMPUTE_PGM_RSRC2:TGID_Y_EN: 0
; COMPUTE_PGM_RSRC2:TGID_Z_EN: 1
; COMPUTE_PGM_RSRC2:TIDIG_COMP_CNT: 0
	.section	.text._ZL19rocblas_her2_kernelIlLi512E19rocblas_complex_numIdEPKS1_PS1_EvbimT1_T2_lT_lS6_lS7_lT3_lS7_li,"axG",@progbits,_ZL19rocblas_her2_kernelIlLi512E19rocblas_complex_numIdEPKS1_PS1_EvbimT1_T2_lT_lS6_lS7_lT3_lS7_li,comdat
	.globl	_ZL19rocblas_her2_kernelIlLi512E19rocblas_complex_numIdEPKS1_PS1_EvbimT1_T2_lT_lS6_lS7_lT3_lS7_li ; -- Begin function _ZL19rocblas_her2_kernelIlLi512E19rocblas_complex_numIdEPKS1_PS1_EvbimT1_T2_lT_lS6_lS7_lT3_lS7_li
	.p2align	8
	.type	_ZL19rocblas_her2_kernelIlLi512E19rocblas_complex_numIdEPKS1_PS1_EvbimT1_T2_lT_lS6_lS7_lT3_lS7_li,@function
_ZL19rocblas_her2_kernelIlLi512E19rocblas_complex_numIdEPKS1_PS1_EvbimT1_T2_lT_lS6_lS7_lT3_lS7_li: ; @_ZL19rocblas_her2_kernelIlLi512E19rocblas_complex_numIdEPKS1_PS1_EvbimT1_T2_lT_lS6_lS7_lT3_lS7_li
; %bb.0:
	s_load_b512 s[4:19], s[0:1], 0x8
	s_wait_kmcnt 0x0
	v_cmp_neq_f64_e64 s2, s[6:7], 0
	v_cmp_neq_f64_e64 s3, s[8:9], 0
	s_or_b32 s2, s2, s3
	s_delay_alu instid0(SALU_CYCLE_1)
	s_and_not1_b32 vcc_lo, exec_lo, s2
	s_cbranch_vccnz .LBB3_11
; %bb.1:
	s_load_b32 s33, s[0:1], 0x80
	s_bfe_u32 s2, ttmp6, 0x40014
	s_lshr_b32 s3, ttmp7, 16
	s_add_co_i32 s2, s2, 1
	s_bfe_u32 s21, ttmp6, 0x40008
	s_mul_i32 s20, s3, s2
	s_getreg_b32 s2, hwreg(HW_REG_IB_STS2, 6, 4)
	s_add_co_i32 s21, s21, s20
	s_cmp_eq_u32 s2, 0
	s_mov_b32 s35, 0
	s_cselect_b32 s34, s3, s21
	s_wait_kmcnt 0x0
	s_cmp_ge_u32 s34, s33
	s_cbranch_scc1 .LBB3_11
; %bb.2:
	s_clause 0x3
	s_load_b128 s[28:31], s[0:1], 0x68
	s_load_b256 s[20:27], s[0:1], 0x48
	s_load_b64 s[36:37], s[0:1], 0x0
	s_load_b32 s3, s[0:1], 0x94
	s_lshl_b64 s[12:13], s[12:13], 4
	s_delay_alu instid0(SALU_CYCLE_1)
	s_add_nc_u64 s[10:11], s[10:11], s[12:13]
	s_wait_kmcnt 0x0
	s_lshl_b64 s[28:29], s[28:29], 4
	s_lshl_b64 s[20:21], s[20:21], 4
	s_bitcmp1_b32 s36, 0
	s_add_nc_u64 s[12:13], s[18:19], s[20:21]
	s_cselect_b32 vcc_lo, -1, 0
	s_bfe_u32 s36, ttmp6, 0x4000c
	s_and_b32 s38, ttmp6, 15
	s_add_co_i32 s36, s36, 1
	v_mov_b32_e32 v1, 0
	s_mul_i32 s36, ttmp9, s36
	s_and_b32 s3, s3, 0xffff
	s_add_co_i32 s38, s38, s36
	s_cmp_eq_u32 s2, 0
	s_cselect_b32 s2, ttmp9, s38
	s_delay_alu instid0(SALU_CYCLE_1) | instskip(NEXT) | instid1(VALU_DEP_1)
	v_mad_nc_u64_u32 v[14:15], s3, s2, v[0:1]
	v_not_b32_e32 v1, v15
	s_delay_alu instid0(VALU_DEP_2) | instskip(NEXT) | instid1(VALU_DEP_1)
	v_not_b32_e32 v0, v14
	v_add_nc_u64_e32 v[0:1], s[4:5], v[0:1]
	s_delay_alu instid0(VALU_DEP_1) | instskip(NEXT) | instid1(VALU_DEP_1)
	v_dual_cndmask_b32 v1, v1, v15 :: v_dual_cndmask_b32 v0, v0, v14
	v_lshlrev_b64_e32 v[2:3], 3, v[0:1]
	s_delay_alu instid0(VALU_DEP_1) | instskip(NEXT) | instid1(VALU_DEP_2)
	v_cvt_f64_u32_e32 v[4:5], v3
	v_or_b32_e32 v1, 1, v2
	s_delay_alu instid0(VALU_DEP_1) | instskip(NEXT) | instid1(VALU_DEP_3)
	v_cvt_f64_u32_e32 v[2:3], v1
	v_ldexp_f64 v[4:5], v[4:5], 32
	s_delay_alu instid0(VALU_DEP_1) | instskip(NEXT) | instid1(VALU_DEP_1)
	v_add_f64_e32 v[2:3], v[4:5], v[2:3]
	v_cmp_gt_f64_e64 s2, 0x10000000, v[2:3]
	s_delay_alu instid0(VALU_DEP_1) | instskip(NEXT) | instid1(VALU_DEP_1)
	v_cndmask_b32_e64 v1, 0, 0x100, s2
	v_ldexp_f64 v[2:3], v[2:3], v1
	v_cndmask_b32_e64 v1, 0, 0xffffff80, s2
	s_delay_alu instid0(VALU_DEP_2) | instskip(SKIP_1) | instid1(TRANS32_DEP_1)
	v_rsq_f64_e32 v[4:5], v[2:3]
	v_cmp_class_f64_e64 s2, v[2:3], 0x260
	v_mul_f64_e32 v[6:7], v[2:3], v[4:5]
	v_mul_f64_e32 v[4:5], 0.5, v[4:5]
	s_delay_alu instid0(VALU_DEP_1) | instskip(NEXT) | instid1(VALU_DEP_1)
	v_fma_f64 v[8:9], -v[4:5], v[6:7], 0.5
	v_fmac_f64_e32 v[6:7], v[6:7], v[8:9]
	v_fmac_f64_e32 v[4:5], v[4:5], v[8:9]
	s_delay_alu instid0(VALU_DEP_2) | instskip(NEXT) | instid1(VALU_DEP_1)
	v_fma_f64 v[8:9], -v[6:7], v[6:7], v[2:3]
	v_fmac_f64_e32 v[6:7], v[8:9], v[4:5]
	s_delay_alu instid0(VALU_DEP_1) | instskip(NEXT) | instid1(VALU_DEP_1)
	v_fma_f64 v[8:9], -v[6:7], v[6:7], v[2:3]
	v_fmac_f64_e32 v[6:7], v[8:9], v[4:5]
	s_delay_alu instid0(VALU_DEP_1) | instskip(NEXT) | instid1(VALU_DEP_1)
	v_ldexp_f64 v[4:5], v[6:7], v1
	v_dual_cndmask_b32 v3, v5, v3, s2 :: v_dual_cndmask_b32 v2, v4, v2, s2
	s_add_co_i32 s2, s37, -1
	s_delay_alu instid0(VALU_DEP_1) | instskip(NEXT) | instid1(VALU_DEP_1)
	v_add_f64_e32 v[2:3], -1.0, v[2:3]
	v_cvt_i32_f64_e32 v1, v[2:3]
	s_delay_alu instid0(VALU_DEP_1) | instskip(NEXT) | instid1(VALU_DEP_1)
	v_lshrrev_b32_e32 v2, 31, v1
	v_add_nc_u32_e32 v1, v1, v2
	s_delay_alu instid0(VALU_DEP_1) | instskip(NEXT) | instid1(VALU_DEP_1)
	v_ashrrev_i32_e32 v16, 1, v1
	v_dual_add_nc_u32 v2, 1, v16 :: v_dual_ashrrev_i32 v17, 31, v16
	s_delay_alu instid0(VALU_DEP_1) | instskip(NEXT) | instid1(VALU_DEP_1)
	v_ashrrev_i32_e32 v3, 31, v2
	v_mul_u64_e32 v[2:3], v[2:3], v[16:17]
	s_delay_alu instid0(VALU_DEP_1) | instskip(NEXT) | instid1(VALU_DEP_1)
	v_alignbit_b32 v1, v3, v2, 1
	v_dual_sub_nc_u32 v17, v0, v1 :: v_dual_sub_nc_u32 v0, s2, v16
	s_delay_alu instid0(VALU_DEP_1) | instskip(SKIP_3) | instid1(VALU_DEP_2)
	v_dual_cndmask_b32 v18, v0, v16 :: v_dual_sub_nc_u32 v1, s2, v17
	s_load_b64 s[2:3], s[0:1], 0x78
	s_wait_xcnt 0x0
	v_cmp_le_i32_e64 s0, v16, v17
	v_dual_cndmask_b32 v0, v1, v17 :: v_dual_ashrrev_i32 v19, 31, v18
	v_cmp_gt_u64_e32 vcc_lo, s[4:5], v[14:15]
	s_add_nc_u64 s[4:5], s[26:27], s[28:29]
	s_delay_alu instid0(VALU_DEP_2) | instskip(NEXT) | instid1(VALU_DEP_3)
	v_ashrrev_i32_e32 v1, 31, v0
	v_mul_u64_e32 v[2:3], s[22:23], v[18:19]
	v_mul_u64_e32 v[4:5], s[14:15], v[18:19]
	;; [unrolled: 1-line block ×3, first 2 shown]
	v_cmp_eq_u32_e64 s1, v0, v18
	v_mul_u64_e32 v[6:7], s[30:31], v[0:1]
	v_mul_u64_e32 v[8:9], s[14:15], v[0:1]
	v_mul_u64_e32 v[10:11], s[22:23], v[0:1]
	s_branch .LBB3_4
.LBB3_3:                                ;   in Loop: Header=BB3_4 Depth=1
	s_wait_xcnt 0x0
	s_or_b32 exec_lo, exec_lo, s22
	s_add_co_i32 s34, s34, 0x10000
	s_delay_alu instid0(SALU_CYCLE_1)
	s_cmp_lt_u32 s34, s33
	s_cbranch_scc0 .LBB3_11
.LBB3_4:                                ; =>This Inner Loop Header: Depth=1
	s_and_saveexec_b32 s22, vcc_lo
	s_cbranch_execz .LBB3_3
; %bb.5:                                ;   in Loop: Header=BB3_4 Depth=1
	s_wait_kmcnt 0x0
	s_mul_u64 s[14:15], s[2:3], s[34:35]
	s_mul_u64 s[18:19], s[16:17], s[34:35]
	;; [unrolled: 1-line block ×3, first 2 shown]
	s_lshl_b64 s[14:15], s[14:15], 4
	s_lshl_b64 s[18:19], s[18:19], 4
	;; [unrolled: 1-line block ×3, first 2 shown]
	s_add_nc_u64 s[14:15], s[4:5], s[14:15]
	s_add_nc_u64 s[18:19], s[10:11], s[18:19]
	s_add_nc_u64 s[20:21], s[12:13], s[20:21]
	s_and_saveexec_b32 s23, s0
	s_delay_alu instid0(SALU_CYCLE_1)
	s_xor_b32 s23, exec_lo, s23
	s_cbranch_execz .LBB3_9
; %bb.6:                                ;   in Loop: Header=BB3_4 Depth=1
	s_and_saveexec_b32 s26, s1
	s_cbranch_execz .LBB3_8
; %bb.7:                                ;   in Loop: Header=BB3_4 Depth=1
	s_delay_alu instid0(VALU_DEP_2) | instskip(NEXT) | instid1(VALU_DEP_2)
	v_lshl_add_u64 v[14:15], v[8:9], 4, s[18:19]
	v_lshl_add_u64 v[18:19], v[10:11], 4, s[20:21]
	;; [unrolled: 1-line block ×3, first 2 shown]
	global_load_b128 v[14:17], v[14:15], off
	global_load_b128 v[18:21], v[18:19], off
	v_lshl_add_u64 v[22:23], v[0:1], 4, v[22:23]
	global_load_b64 v[24:25], v[22:23], off
	s_wait_loadcnt 0x2
	v_mul_f64_e32 v[26:27], s[6:7], v[16:17]
	v_mul_f64_e32 v[28:29], s[8:9], v[16:17]
	s_wait_loadcnt 0x1
	v_mul_f64_e32 v[30:31], s[8:9], v[18:19]
	v_mul_f64_e32 v[32:33], s[8:9], v[20:21]
	s_delay_alu instid0(VALU_DEP_4) | instskip(NEXT) | instid1(VALU_DEP_4)
	v_fmac_f64_e32 v[26:27], s[8:9], v[14:15]
	v_fma_f64 v[28:29], s[6:7], v[14:15], -v[28:29]
	s_delay_alu instid0(VALU_DEP_4) | instskip(NEXT) | instid1(VALU_DEP_4)
	v_fma_f64 v[30:31], s[6:7], v[20:21], -v[30:31]
	v_fmac_f64_e32 v[32:33], s[6:7], v[18:19]
	s_delay_alu instid0(VALU_DEP_4) | instskip(NEXT) | instid1(VALU_DEP_4)
	v_mul_f64_e32 v[34:35], v[20:21], v[26:27]
	v_mul_f64_e32 v[20:21], v[20:21], v[28:29]
	s_delay_alu instid0(VALU_DEP_4) | instskip(NEXT) | instid1(VALU_DEP_4)
	v_mul_f64_e32 v[36:37], v[16:17], v[30:31]
	v_mul_f64_e32 v[16:17], v[16:17], v[32:33]
	s_delay_alu instid0(VALU_DEP_4) | instskip(SKIP_1) | instid1(VALU_DEP_4)
	v_fmac_f64_e32 v[34:35], v[18:19], v[28:29]
	s_wait_xcnt 0x1
	v_fma_f64 v[18:19], v[18:19], v[26:27], -v[20:21]
	s_delay_alu instid0(VALU_DEP_4) | instskip(NEXT) | instid1(VALU_DEP_4)
	v_fmac_f64_e32 v[36:37], v[14:15], v[32:33]
	v_fma_f64 v[16:17], v[14:15], v[30:31], -v[16:17]
	s_wait_loadcnt 0x0
	s_delay_alu instid0(VALU_DEP_4) | instskip(NEXT) | instid1(VALU_DEP_2)
	v_add_f64_e32 v[20:21], v[24:25], v[34:35]
	v_add_f64_e32 v[16:17], v[18:19], v[16:17]
	s_delay_alu instid0(VALU_DEP_2)
	v_add_f64_e32 v[14:15], v[20:21], v[36:37]
	global_store_b128 v[22:23], v[14:17], off
.LBB3_8:                                ;   in Loop: Header=BB3_4 Depth=1
	s_wait_xcnt 0x0
	s_or_b32 exec_lo, exec_lo, s26
.LBB3_9:                                ;   in Loop: Header=BB3_4 Depth=1
	s_and_not1_saveexec_b32 s23, s23
	s_cbranch_execz .LBB3_3
; %bb.10:                               ;   in Loop: Header=BB3_4 Depth=1
	s_delay_alu instid0(VALU_DEP_2) | instskip(NEXT) | instid1(VALU_DEP_2)
	v_lshl_add_u64 v[22:23], v[8:9], 4, s[18:19]
	v_lshl_add_u64 v[24:25], v[10:11], 4, s[20:21]
	;; [unrolled: 1-line block ×4, first 2 shown]
	global_load_b128 v[14:17], v[22:23], off
	s_clause 0x1
	global_load_b128 v[18:21], v[24:25], off
	global_load_b128 v[22:25], v[30:31], off
	;; [unrolled: 1-line block ×3, first 2 shown]
	s_wait_xcnt 0x1
	v_lshl_add_u64 v[30:31], v[12:13], 4, s[14:15]
	s_delay_alu instid0(VALU_DEP_1)
	v_lshl_add_u64 v[34:35], v[0:1], 4, v[30:31]
	global_load_b128 v[30:33], v[34:35], off
	s_wait_loadcnt 0x4
	v_mul_f64_e32 v[36:37], s[6:7], v[16:17]
	v_mul_f64_e32 v[16:17], s[8:9], v[16:17]
	s_wait_loadcnt 0x3
	v_mul_f64_e32 v[38:39], s[8:9], v[18:19]
	v_mul_f64_e32 v[40:41], s[8:9], v[20:21]
	s_delay_alu instid0(VALU_DEP_4) | instskip(NEXT) | instid1(VALU_DEP_4)
	v_fmac_f64_e32 v[36:37], s[8:9], v[14:15]
	v_fma_f64 v[14:15], s[6:7], v[14:15], -v[16:17]
	s_delay_alu instid0(VALU_DEP_4) | instskip(NEXT) | instid1(VALU_DEP_4)
	v_fma_f64 v[16:17], s[6:7], v[20:21], -v[38:39]
	v_fmac_f64_e32 v[40:41], s[6:7], v[18:19]
	s_wait_loadcnt 0x2
	s_delay_alu instid0(VALU_DEP_4) | instskip(NEXT) | instid1(VALU_DEP_4)
	v_mul_f64_e32 v[18:19], v[24:25], v[36:37]
	v_mul_f64_e32 v[20:21], v[24:25], v[14:15]
	s_wait_loadcnt 0x1
	s_delay_alu instid0(VALU_DEP_4) | instskip(NEXT) | instid1(VALU_DEP_4)
	v_mul_f64_e32 v[24:25], v[28:29], v[16:17]
	v_mul_f64_e32 v[28:29], v[28:29], v[40:41]
	s_delay_alu instid0(VALU_DEP_4) | instskip(NEXT) | instid1(VALU_DEP_4)
	v_fmac_f64_e32 v[18:19], v[22:23], v[14:15]
	v_fma_f64 v[14:15], v[22:23], v[36:37], -v[20:21]
	s_delay_alu instid0(VALU_DEP_4) | instskip(NEXT) | instid1(VALU_DEP_4)
	v_fmac_f64_e32 v[24:25], v[26:27], v[40:41]
	v_fma_f64 v[16:17], v[26:27], v[16:17], -v[28:29]
	s_delay_alu instid0(VALU_DEP_2) | instskip(NEXT) | instid1(VALU_DEP_2)
	v_add_f64_e32 v[18:19], v[18:19], v[24:25]
	v_add_f64_e32 v[16:17], v[14:15], v[16:17]
	s_wait_loadcnt 0x0
	s_delay_alu instid0(VALU_DEP_2) | instskip(NEXT) | instid1(VALU_DEP_2)
	v_add_f64_e32 v[14:15], v[30:31], v[18:19]
	v_add_f64_e32 v[16:17], v[32:33], v[16:17]
	global_store_b128 v[34:35], v[14:17], off
	s_branch .LBB3_3
.LBB3_11:
	s_endpgm
	.section	.rodata,"a",@progbits
	.p2align	6, 0x0
	.amdhsa_kernel _ZL19rocblas_her2_kernelIlLi512E19rocblas_complex_numIdEPKS1_PS1_EvbimT1_T2_lT_lS6_lS7_lT3_lS7_li
		.amdhsa_group_segment_fixed_size 0
		.amdhsa_private_segment_fixed_size 0
		.amdhsa_kernarg_size 392
		.amdhsa_user_sgpr_count 2
		.amdhsa_user_sgpr_dispatch_ptr 0
		.amdhsa_user_sgpr_queue_ptr 0
		.amdhsa_user_sgpr_kernarg_segment_ptr 1
		.amdhsa_user_sgpr_dispatch_id 0
		.amdhsa_user_sgpr_kernarg_preload_length 0
		.amdhsa_user_sgpr_kernarg_preload_offset 0
		.amdhsa_user_sgpr_private_segment_size 0
		.amdhsa_wavefront_size32 1
		.amdhsa_uses_dynamic_stack 0
		.amdhsa_enable_private_segment 0
		.amdhsa_system_sgpr_workgroup_id_x 1
		.amdhsa_system_sgpr_workgroup_id_y 0
		.amdhsa_system_sgpr_workgroup_id_z 1
		.amdhsa_system_sgpr_workgroup_info 0
		.amdhsa_system_vgpr_workitem_id 0
		.amdhsa_next_free_vgpr 42
		.amdhsa_next_free_sgpr 39
		.amdhsa_named_barrier_count 0
		.amdhsa_reserve_vcc 1
		.amdhsa_float_round_mode_32 0
		.amdhsa_float_round_mode_16_64 0
		.amdhsa_float_denorm_mode_32 3
		.amdhsa_float_denorm_mode_16_64 3
		.amdhsa_fp16_overflow 0
		.amdhsa_memory_ordered 1
		.amdhsa_forward_progress 1
		.amdhsa_inst_pref_size 10
		.amdhsa_round_robin_scheduling 0
		.amdhsa_exception_fp_ieee_invalid_op 0
		.amdhsa_exception_fp_denorm_src 0
		.amdhsa_exception_fp_ieee_div_zero 0
		.amdhsa_exception_fp_ieee_overflow 0
		.amdhsa_exception_fp_ieee_underflow 0
		.amdhsa_exception_fp_ieee_inexact 0
		.amdhsa_exception_int_div_zero 0
	.end_amdhsa_kernel
	.section	.text._ZL19rocblas_her2_kernelIlLi512E19rocblas_complex_numIdEPKS1_PS1_EvbimT1_T2_lT_lS6_lS7_lT3_lS7_li,"axG",@progbits,_ZL19rocblas_her2_kernelIlLi512E19rocblas_complex_numIdEPKS1_PS1_EvbimT1_T2_lT_lS6_lS7_lT3_lS7_li,comdat
.Lfunc_end3:
	.size	_ZL19rocblas_her2_kernelIlLi512E19rocblas_complex_numIdEPKS1_PS1_EvbimT1_T2_lT_lS6_lS7_lT3_lS7_li, .Lfunc_end3-_ZL19rocblas_her2_kernelIlLi512E19rocblas_complex_numIdEPKS1_PS1_EvbimT1_T2_lT_lS6_lS7_lT3_lS7_li
                                        ; -- End function
	.set _ZL19rocblas_her2_kernelIlLi512E19rocblas_complex_numIdEPKS1_PS1_EvbimT1_T2_lT_lS6_lS7_lT3_lS7_li.num_vgpr, 42
	.set _ZL19rocblas_her2_kernelIlLi512E19rocblas_complex_numIdEPKS1_PS1_EvbimT1_T2_lT_lS6_lS7_lT3_lS7_li.num_agpr, 0
	.set _ZL19rocblas_her2_kernelIlLi512E19rocblas_complex_numIdEPKS1_PS1_EvbimT1_T2_lT_lS6_lS7_lT3_lS7_li.numbered_sgpr, 39
	.set _ZL19rocblas_her2_kernelIlLi512E19rocblas_complex_numIdEPKS1_PS1_EvbimT1_T2_lT_lS6_lS7_lT3_lS7_li.num_named_barrier, 0
	.set _ZL19rocblas_her2_kernelIlLi512E19rocblas_complex_numIdEPKS1_PS1_EvbimT1_T2_lT_lS6_lS7_lT3_lS7_li.private_seg_size, 0
	.set _ZL19rocblas_her2_kernelIlLi512E19rocblas_complex_numIdEPKS1_PS1_EvbimT1_T2_lT_lS6_lS7_lT3_lS7_li.uses_vcc, 1
	.set _ZL19rocblas_her2_kernelIlLi512E19rocblas_complex_numIdEPKS1_PS1_EvbimT1_T2_lT_lS6_lS7_lT3_lS7_li.uses_flat_scratch, 0
	.set _ZL19rocblas_her2_kernelIlLi512E19rocblas_complex_numIdEPKS1_PS1_EvbimT1_T2_lT_lS6_lS7_lT3_lS7_li.has_dyn_sized_stack, 0
	.set _ZL19rocblas_her2_kernelIlLi512E19rocblas_complex_numIdEPKS1_PS1_EvbimT1_T2_lT_lS6_lS7_lT3_lS7_li.has_recursion, 0
	.set _ZL19rocblas_her2_kernelIlLi512E19rocblas_complex_numIdEPKS1_PS1_EvbimT1_T2_lT_lS6_lS7_lT3_lS7_li.has_indirect_call, 0
	.section	.AMDGPU.csdata,"",@progbits
; Kernel info:
; codeLenInByte = 1268
; TotalNumSgprs: 41
; NumVgprs: 42
; ScratchSize: 0
; MemoryBound: 0
; FloatMode: 240
; IeeeMode: 1
; LDSByteSize: 0 bytes/workgroup (compile time only)
; SGPRBlocks: 0
; VGPRBlocks: 2
; NumSGPRsForWavesPerEU: 41
; NumVGPRsForWavesPerEU: 42
; NamedBarCnt: 0
; Occupancy: 16
; WaveLimiterHint : 1
; COMPUTE_PGM_RSRC2:SCRATCH_EN: 0
; COMPUTE_PGM_RSRC2:USER_SGPR: 2
; COMPUTE_PGM_RSRC2:TRAP_HANDLER: 0
; COMPUTE_PGM_RSRC2:TGID_X_EN: 1
; COMPUTE_PGM_RSRC2:TGID_Y_EN: 0
; COMPUTE_PGM_RSRC2:TGID_Z_EN: 1
; COMPUTE_PGM_RSRC2:TIDIG_COMP_CNT: 0
	.section	.text._ZL19rocblas_her2_kernelIlLi512EPK19rocblas_complex_numIfEPKS3_PKPS1_EvbimT1_T2_lT_lSA_lSB_lT3_lSB_li,"axG",@progbits,_ZL19rocblas_her2_kernelIlLi512EPK19rocblas_complex_numIfEPKS3_PKPS1_EvbimT1_T2_lT_lSA_lSB_lT3_lSB_li,comdat
	.globl	_ZL19rocblas_her2_kernelIlLi512EPK19rocblas_complex_numIfEPKS3_PKPS1_EvbimT1_T2_lT_lSA_lSB_lT3_lSB_li ; -- Begin function _ZL19rocblas_her2_kernelIlLi512EPK19rocblas_complex_numIfEPKS3_PKPS1_EvbimT1_T2_lT_lSA_lSB_lT3_lSB_li
	.p2align	8
	.type	_ZL19rocblas_her2_kernelIlLi512EPK19rocblas_complex_numIfEPKS3_PKPS1_EvbimT1_T2_lT_lSA_lSB_lT3_lSB_li,@function
_ZL19rocblas_her2_kernelIlLi512EPK19rocblas_complex_numIfEPKS3_PKPS1_EvbimT1_T2_lT_lSA_lSB_lT3_lSB_li: ; @_ZL19rocblas_her2_kernelIlLi512EPK19rocblas_complex_numIfEPKS3_PKPS1_EvbimT1_T2_lT_lSA_lSB_lT3_lSB_li
; %bb.0:
	s_load_b256 s[4:11], s[0:1], 0x8
	s_wait_kmcnt 0x0
	s_load_b64 s[20:21], s[6:7], 0x0
	s_wait_kmcnt 0x0
	s_cmp_neq_f32 s20, 0
	s_cselect_b32 s2, -1, 0
	s_cmp_neq_f32 s21, 0
	s_cselect_b32 s3, -1, 0
	s_delay_alu instid0(SALU_CYCLE_1) | instskip(NEXT) | instid1(SALU_CYCLE_1)
	s_or_b32 s2, s2, s3
	s_and_not1_b32 vcc_lo, exec_lo, s2
	s_cbranch_vccnz .LBB4_11
; %bb.1:
	s_load_b32 s22, s[0:1], 0x78
	s_bfe_u32 s2, ttmp6, 0x40014
	s_lshr_b32 s3, ttmp7, 16
	s_add_co_i32 s2, s2, 1
	s_bfe_u32 s7, ttmp6, 0x40008
	s_mul_i32 s2, s3, s2
	s_getreg_b32 s6, hwreg(HW_REG_IB_STS2, 6, 4)
	s_add_co_i32 s7, s7, s2
	s_cmp_eq_u32 s6, 0
	s_cselect_b32 s23, s3, s7
	s_wait_kmcnt 0x0
	s_cmp_ge_u32 s23, s22
	s_cbranch_scc1 .LBB4_11
; %bb.2:
	s_clause 0x1
	s_load_b64 s[2:3], s[0:1], 0x0
	s_load_b32 s7, s[0:1], 0x8c
	s_wait_kmcnt 0x0
	s_bitcmp1_b32 s2, 0
	s_cselect_b32 vcc_lo, -1, 0
	s_bfe_u32 s2, ttmp6, 0x4000c
	s_and_b32 s12, ttmp6, 15
	s_add_co_i32 s2, s2, 1
	v_mov_b32_e32 v1, 0
	s_mul_i32 s2, ttmp9, s2
	s_and_b32 s7, s7, 0xffff
	s_add_co_i32 s12, s12, s2
	s_cmp_eq_u32 s6, 0
	s_cselect_b32 s2, ttmp9, s12
	s_load_b128 s[12:15], s[0:1], 0x58
	v_mad_nc_u64_u32 v[14:15], s7, s2, v[0:1]
	s_clause 0x2
	s_load_b64 s[6:7], s[0:1], 0x28
	s_load_b64 s[16:17], s[0:1], 0x48
	s_load_b64 s[18:19], s[0:1], 0x68
	s_delay_alu instid0(VALU_DEP_1) | instskip(NEXT) | instid1(VALU_DEP_2)
	v_not_b32_e32 v1, v15
	v_not_b32_e32 v0, v14
	s_delay_alu instid0(VALU_DEP_1) | instskip(NEXT) | instid1(VALU_DEP_1)
	v_add_nc_u64_e32 v[0:1], s[4:5], v[0:1]
	v_dual_cndmask_b32 v1, v1, v15 :: v_dual_cndmask_b32 v0, v0, v14
	s_delay_alu instid0(VALU_DEP_1) | instskip(NEXT) | instid1(VALU_DEP_1)
	v_lshlrev_b64_e32 v[2:3], 3, v[0:1]
	v_cvt_f64_u32_e32 v[4:5], v3
	s_delay_alu instid0(VALU_DEP_2) | instskip(NEXT) | instid1(VALU_DEP_1)
	v_or_b32_e32 v1, 1, v2
	v_cvt_f64_u32_e32 v[2:3], v1
	s_delay_alu instid0(VALU_DEP_3) | instskip(NEXT) | instid1(VALU_DEP_1)
	v_ldexp_f64 v[4:5], v[4:5], 32
	v_add_f64_e32 v[2:3], v[4:5], v[2:3]
	s_delay_alu instid0(VALU_DEP_1) | instskip(NEXT) | instid1(VALU_DEP_1)
	v_cmp_gt_f64_e64 s2, 0x10000000, v[2:3]
	v_cndmask_b32_e64 v1, 0, 0x100, s2
	s_delay_alu instid0(VALU_DEP_1) | instskip(SKIP_1) | instid1(VALU_DEP_2)
	v_ldexp_f64 v[2:3], v[2:3], v1
	v_cndmask_b32_e64 v1, 0, 0xffffff80, s2
	v_rsq_f64_e32 v[4:5], v[2:3]
	v_cmp_class_f64_e64 s2, v[2:3], 0x260
	s_delay_alu instid0(TRANS32_DEP_1) | instskip(SKIP_1) | instid1(VALU_DEP_1)
	v_mul_f64_e32 v[6:7], v[2:3], v[4:5]
	v_mul_f64_e32 v[4:5], 0.5, v[4:5]
	v_fma_f64 v[8:9], -v[4:5], v[6:7], 0.5
	s_delay_alu instid0(VALU_DEP_1) | instskip(SKIP_1) | instid1(VALU_DEP_2)
	v_fmac_f64_e32 v[6:7], v[6:7], v[8:9]
	v_fmac_f64_e32 v[4:5], v[4:5], v[8:9]
	v_fma_f64 v[8:9], -v[6:7], v[6:7], v[2:3]
	s_delay_alu instid0(VALU_DEP_1) | instskip(NEXT) | instid1(VALU_DEP_1)
	v_fmac_f64_e32 v[6:7], v[8:9], v[4:5]
	v_fma_f64 v[8:9], -v[6:7], v[6:7], v[2:3]
	s_delay_alu instid0(VALU_DEP_1) | instskip(NEXT) | instid1(VALU_DEP_1)
	v_fmac_f64_e32 v[6:7], v[8:9], v[4:5]
	v_ldexp_f64 v[4:5], v[6:7], v1
	s_delay_alu instid0(VALU_DEP_1) | instskip(SKIP_2) | instid1(VALU_DEP_1)
	v_dual_cndmask_b32 v3, v5, v3, s2 :: v_dual_cndmask_b32 v2, v4, v2, s2
	s_add_co_i32 s2, s3, -1
	s_mov_b32 s3, s20
	v_add_f64_e32 v[2:3], -1.0, v[2:3]
	s_delay_alu instid0(VALU_DEP_1) | instskip(NEXT) | instid1(VALU_DEP_1)
	v_cvt_i32_f64_e32 v1, v[2:3]
	v_lshrrev_b32_e32 v2, 31, v1
	s_delay_alu instid0(VALU_DEP_1) | instskip(NEXT) | instid1(VALU_DEP_1)
	v_add_nc_u32_e32 v1, v1, v2
	v_ashrrev_i32_e32 v16, 1, v1
	s_delay_alu instid0(VALU_DEP_1) | instskip(NEXT) | instid1(VALU_DEP_1)
	v_dual_add_nc_u32 v2, 1, v16 :: v_dual_ashrrev_i32 v17, 31, v16
	v_ashrrev_i32_e32 v3, 31, v2
	s_delay_alu instid0(VALU_DEP_1) | instskip(NEXT) | instid1(VALU_DEP_1)
	v_mul_u64_e32 v[2:3], v[2:3], v[16:17]
	v_alignbit_b32 v1, v3, v2, 1
	s_delay_alu instid0(VALU_DEP_1) | instskip(NEXT) | instid1(VALU_DEP_1)
	v_dual_sub_nc_u32 v17, v0, v1 :: v_dual_sub_nc_u32 v0, s2, v16
	v_dual_cndmask_b32 v18, v0, v16 :: v_dual_sub_nc_u32 v1, s2, v17
	s_mov_b32 s2, s21
	s_delay_alu instid0(VALU_DEP_1) | instskip(SKIP_1) | instid1(VALU_DEP_2)
	v_dual_cndmask_b32 v0, v1, v17 :: v_dual_ashrrev_i32 v19, 31, v18
	v_cmp_gt_u64_e32 vcc_lo, s[4:5], v[14:15]
	v_ashrrev_i32_e32 v1, 31, v0
	s_wait_kmcnt 0x0
	s_delay_alu instid0(VALU_DEP_3)
	v_mul_u64_e32 v[2:3], s[16:17], v[18:19]
	v_mul_u64_e32 v[4:5], s[6:7], v[18:19]
	;; [unrolled: 1-line block ×6, first 2 shown]
	s_load_b128 s[16:19], s[0:1], 0x38
	s_wait_xcnt 0x0
	v_cmp_le_i32_e64 s0, v16, v17
	v_cmp_eq_u32_e64 s1, v0, v18
	s_lshl_b64 s[4:5], s[14:15], 3
	s_lshl_b64 s[6:7], s[10:11], 3
	s_wait_kmcnt 0x0
	s_lshl_b64 s[10:11], s[18:19], 3
	s_branch .LBB4_4
.LBB4_3:                                ;   in Loop: Header=BB4_4 Depth=1
	s_wait_xcnt 0x0
	s_or_b32 exec_lo, exec_lo, s14
	s_add_co_i32 s23, s23, 0x10000
	s_delay_alu instid0(SALU_CYCLE_1)
	s_cmp_lt_u32 s23, s22
	s_cbranch_scc0 .LBB4_11
.LBB4_4:                                ; =>This Inner Loop Header: Depth=1
	s_and_saveexec_b32 s14, vcc_lo
	s_cbranch_execz .LBB4_3
; %bb.5:                                ;   in Loop: Header=BB4_4 Depth=1
	v_mov_b32_e32 v20, s23
	s_clause 0x2
	global_load_b64 v[14:15], v20, s[12:13] scale_offset
	global_load_b64 v[16:17], v20, s[8:9] scale_offset
	;; [unrolled: 1-line block ×3, first 2 shown]
	s_wait_loadcnt 0x2
	v_add_nc_u64_e32 v[14:15], s[4:5], v[14:15]
	s_wait_loadcnt 0x1
	v_add_nc_u64_e32 v[16:17], s[6:7], v[16:17]
	;; [unrolled: 2-line block ×3, first 2 shown]
	s_wait_xcnt 0x0
	s_and_saveexec_b32 s15, s0
	s_delay_alu instid0(SALU_CYCLE_1)
	s_xor_b32 s15, exec_lo, s15
	s_cbranch_execz .LBB4_9
; %bb.6:                                ;   in Loop: Header=BB4_4 Depth=1
	s_and_saveexec_b32 s18, s1
	s_cbranch_execz .LBB4_8
; %bb.7:                                ;   in Loop: Header=BB4_4 Depth=1
	v_lshl_add_u64 v[16:17], v[8:9], 3, v[16:17]
	v_lshl_add_u64 v[18:19], v[10:11], 3, v[18:19]
	;; [unrolled: 1-line block ×3, first 2 shown]
	v_mov_b64_e32 v[20:21], s[20:21]
	v_mov_b64_e32 v[22:23], s[2:3]
	flat_load_b64 v[16:17], v[16:17]
	flat_load_b64 v[18:19], v[18:19]
	v_lshl_add_u64 v[14:15], v[0:1], 3, v[14:15]
	flat_load_b32 v30, v[14:15]
	s_wait_loadcnt_dscnt 0x202
	v_pk_mul_f32 v[24:25], v[20:21], v[16:17] op_sel:[0,1]
	s_delay_alu instid0(VALU_DEP_1) | instskip(SKIP_4) | instid1(VALU_DEP_3)
	v_pk_fma_f32 v[26:27], v[22:23], v[16:17], v[24:25] op_sel_hi:[1,0,1] neg_lo:[0,0,1] neg_hi:[0,0,1]
	v_pk_fma_f32 v[22:23], v[22:23], v[16:17], v[24:25] op_sel_hi:[1,0,1]
	s_wait_loadcnt_dscnt 0x101
	v_pk_mul_f32 v[24:25], v[20:21], v[18:19]
	v_pk_mul_f32 v[20:21], v[20:21], v[18:19] op_sel:[0,1] op_sel_hi:[1,0]
	v_dual_mov_b32 v28, v27 :: v_dual_mov_b32 v29, v22
	s_delay_alu instid0(VALU_DEP_3) | instskip(NEXT) | instid1(VALU_DEP_3)
	v_dual_add_f32 v24, v24, v25 :: v_dual_mov_b32 v23, v27
	v_pk_add_f32 v[20:21], v[20:21], v[20:21] op_sel:[0,1] op_sel_hi:[0,1] neg_lo:[0,1] neg_hi:[0,1]
	s_delay_alu instid0(VALU_DEP_3) | instskip(NEXT) | instid1(VALU_DEP_3)
	v_pk_mul_f32 v[28:29], v[18:19], v[28:29]
	v_pk_mul_f32 v[24:25], v[16:17], v[24:25] op_sel_hi:[1,0]
	s_delay_alu instid0(VALU_DEP_2) | instskip(NEXT) | instid1(VALU_DEP_2)
	v_dual_mul_f32 v26, v18, v22 :: v_dual_add_f32 v27, v28, v29
	v_pk_fma_f32 v[28:29], v[16:17], v[20:21], v[24:25] op_sel:[1,0,0] op_sel_hi:[0,1,1] neg_lo:[0,0,1] neg_hi:[0,0,1]
	s_wait_xcnt 0x2
	v_pk_fma_f32 v[16:17], v[16:17], v[20:21], v[24:25] op_sel:[1,0,0] op_sel_hi:[0,1,1]
	s_wait_xcnt 0x1
	v_pk_fma_f32 v[18:19], v[18:19], v[22:23], v[26:27] op_sel_hi:[1,1,0] neg_lo:[1,0,0] neg_hi:[1,0,0]
	s_wait_loadcnt_dscnt 0x0
	v_dual_add_f32 v18, v30, v27 :: v_dual_mov_b32 v17, v29
	s_delay_alu instid0(VALU_DEP_1)
	v_pk_add_f32 v[16:17], v[18:19], v[16:17]
	flat_store_b64 v[14:15], v[16:17]
.LBB4_8:                                ;   in Loop: Header=BB4_4 Depth=1
	s_wait_xcnt 0x0
	s_or_b32 exec_lo, exec_lo, s18
                                        ; implicit-def: $vgpr16_vgpr17
                                        ; implicit-def: $vgpr18_vgpr19
                                        ; implicit-def: $vgpr14_vgpr15
.LBB4_9:                                ;   in Loop: Header=BB4_4 Depth=1
	s_and_not1_saveexec_b32 s15, s15
	s_cbranch_execz .LBB4_3
; %bb.10:                               ;   in Loop: Header=BB4_4 Depth=1
	v_lshl_add_u64 v[20:21], v[8:9], 3, v[16:17]
	v_lshl_add_u64 v[22:23], v[10:11], 3, v[18:19]
	;; [unrolled: 1-line block ×5, first 2 shown]
	flat_load_b64 v[24:25], v[20:21]
	s_clause 0x1
	flat_load_b64 v[26:27], v[22:23]
	flat_load_b64 v[20:21], v[18:19]
	;; [unrolled: 1-line block ×3, first 2 shown]
	s_wait_xcnt 0x1
	v_mov_b64_e32 v[18:19], s[20:21]
	v_lshl_add_u64 v[14:15], v[0:1], 3, v[14:15]
	v_mov_b64_e32 v[28:29], s[2:3]
	flat_load_b64 v[16:17], v[14:15]
	s_wait_loadcnt_dscnt 0x404
	v_pk_mul_f32 v[30:31], v[18:19], v[24:25]
	s_wait_loadcnt_dscnt 0x303
	v_pk_mul_f32 v[32:33], v[18:19], v[26:27]
	v_pk_mul_f32 v[24:25], v[28:29], v[24:25]
	v_pk_mul_f32 v[18:19], v[18:19], v[26:27] op_sel:[0,1] op_sel_hi:[1,0]
	v_pk_add_f32 v[26:27], v[30:31], v[30:31] op_sel:[0,1] op_sel_hi:[0,1] neg_lo:[0,1] neg_hi:[0,1]
	s_delay_alu instid0(VALU_DEP_3) | instskip(NEXT) | instid1(VALU_DEP_3)
	v_add_f32_e32 v24, v24, v25
	v_pk_add_f32 v[18:19], v[18:19], v[18:19] op_sel:[0,1] op_sel_hi:[0,1] neg_lo:[0,1] neg_hi:[0,1]
	s_wait_loadcnt_dscnt 0x202
	s_delay_alu instid0(VALU_DEP_3) | instskip(NEXT) | instid1(VALU_DEP_1)
	v_pk_mul_f32 v[26:27], v[20:21], v[26:27]
	v_pk_fma_f32 v[30:31], v[20:21], v[24:25], v[26:27] op_sel:[1,0,0] op_sel_hi:[0,0,1] neg_lo:[0,0,1] neg_hi:[0,0,1]
	v_add_f32_e32 v28, v32, v33
	v_pk_fma_f32 v[20:21], v[20:21], v[24:25], v[26:27] op_sel:[1,0,0] op_sel_hi:[0,0,1]
	s_delay_alu instid0(VALU_DEP_3) | instskip(SKIP_1) | instid1(VALU_DEP_3)
	v_mov_b32_e32 v21, v31
	s_wait_loadcnt_dscnt 0x101
	v_pk_mul_f32 v[28:29], v[22:23], v[28:29] op_sel_hi:[1,0]
	s_delay_alu instid0(VALU_DEP_1) | instskip(SKIP_1) | instid1(VALU_DEP_2)
	v_pk_fma_f32 v[32:33], v[22:23], v[18:19], v[28:29] op_sel:[1,0,0] op_sel_hi:[0,1,1] neg_lo:[0,0,1] neg_hi:[0,0,1]
	v_pk_fma_f32 v[18:19], v[22:23], v[18:19], v[28:29] op_sel:[1,0,0] op_sel_hi:[0,1,1]
	v_mov_b32_e32 v19, v33
	s_delay_alu instid0(VALU_DEP_1) | instskip(SKIP_1) | instid1(VALU_DEP_1)
	v_pk_add_f32 v[18:19], v[20:21], v[18:19]
	s_wait_loadcnt_dscnt 0x0
	v_pk_add_f32 v[16:17], v[16:17], v[18:19]
	flat_store_b64 v[14:15], v[16:17]
	s_branch .LBB4_3
.LBB4_11:
	s_endpgm
	.section	.rodata,"a",@progbits
	.p2align	6, 0x0
	.amdhsa_kernel _ZL19rocblas_her2_kernelIlLi512EPK19rocblas_complex_numIfEPKS3_PKPS1_EvbimT1_T2_lT_lSA_lSB_lT3_lSB_li
		.amdhsa_group_segment_fixed_size 0
		.amdhsa_private_segment_fixed_size 0
		.amdhsa_kernarg_size 384
		.amdhsa_user_sgpr_count 2
		.amdhsa_user_sgpr_dispatch_ptr 0
		.amdhsa_user_sgpr_queue_ptr 0
		.amdhsa_user_sgpr_kernarg_segment_ptr 1
		.amdhsa_user_sgpr_dispatch_id 0
		.amdhsa_user_sgpr_kernarg_preload_length 0
		.amdhsa_user_sgpr_kernarg_preload_offset 0
		.amdhsa_user_sgpr_private_segment_size 0
		.amdhsa_wavefront_size32 1
		.amdhsa_uses_dynamic_stack 0
		.amdhsa_enable_private_segment 0
		.amdhsa_system_sgpr_workgroup_id_x 1
		.amdhsa_system_sgpr_workgroup_id_y 0
		.amdhsa_system_sgpr_workgroup_id_z 1
		.amdhsa_system_sgpr_workgroup_info 0
		.amdhsa_system_vgpr_workitem_id 0
		.amdhsa_next_free_vgpr 34
		.amdhsa_next_free_sgpr 24
		.amdhsa_named_barrier_count 0
		.amdhsa_reserve_vcc 1
		.amdhsa_float_round_mode_32 0
		.amdhsa_float_round_mode_16_64 0
		.amdhsa_float_denorm_mode_32 3
		.amdhsa_float_denorm_mode_16_64 3
		.amdhsa_fp16_overflow 0
		.amdhsa_memory_ordered 1
		.amdhsa_forward_progress 1
		.amdhsa_inst_pref_size 11
		.amdhsa_round_robin_scheduling 0
		.amdhsa_exception_fp_ieee_invalid_op 0
		.amdhsa_exception_fp_denorm_src 0
		.amdhsa_exception_fp_ieee_div_zero 0
		.amdhsa_exception_fp_ieee_overflow 0
		.amdhsa_exception_fp_ieee_underflow 0
		.amdhsa_exception_fp_ieee_inexact 0
		.amdhsa_exception_int_div_zero 0
	.end_amdhsa_kernel
	.section	.text._ZL19rocblas_her2_kernelIlLi512EPK19rocblas_complex_numIfEPKS3_PKPS1_EvbimT1_T2_lT_lSA_lSB_lT3_lSB_li,"axG",@progbits,_ZL19rocblas_her2_kernelIlLi512EPK19rocblas_complex_numIfEPKS3_PKPS1_EvbimT1_T2_lT_lSA_lSB_lT3_lSB_li,comdat
.Lfunc_end4:
	.size	_ZL19rocblas_her2_kernelIlLi512EPK19rocblas_complex_numIfEPKS3_PKPS1_EvbimT1_T2_lT_lSA_lSB_lT3_lSB_li, .Lfunc_end4-_ZL19rocblas_her2_kernelIlLi512EPK19rocblas_complex_numIfEPKS3_PKPS1_EvbimT1_T2_lT_lSA_lSB_lT3_lSB_li
                                        ; -- End function
	.set _ZL19rocblas_her2_kernelIlLi512EPK19rocblas_complex_numIfEPKS3_PKPS1_EvbimT1_T2_lT_lSA_lSB_lT3_lSB_li.num_vgpr, 34
	.set _ZL19rocblas_her2_kernelIlLi512EPK19rocblas_complex_numIfEPKS3_PKPS1_EvbimT1_T2_lT_lSA_lSB_lT3_lSB_li.num_agpr, 0
	.set _ZL19rocblas_her2_kernelIlLi512EPK19rocblas_complex_numIfEPKS3_PKPS1_EvbimT1_T2_lT_lSA_lSB_lT3_lSB_li.numbered_sgpr, 24
	.set _ZL19rocblas_her2_kernelIlLi512EPK19rocblas_complex_numIfEPKS3_PKPS1_EvbimT1_T2_lT_lSA_lSB_lT3_lSB_li.num_named_barrier, 0
	.set _ZL19rocblas_her2_kernelIlLi512EPK19rocblas_complex_numIfEPKS3_PKPS1_EvbimT1_T2_lT_lSA_lSB_lT3_lSB_li.private_seg_size, 0
	.set _ZL19rocblas_her2_kernelIlLi512EPK19rocblas_complex_numIfEPKS3_PKPS1_EvbimT1_T2_lT_lSA_lSB_lT3_lSB_li.uses_vcc, 1
	.set _ZL19rocblas_her2_kernelIlLi512EPK19rocblas_complex_numIfEPKS3_PKPS1_EvbimT1_T2_lT_lSA_lSB_lT3_lSB_li.uses_flat_scratch, 1
	.set _ZL19rocblas_her2_kernelIlLi512EPK19rocblas_complex_numIfEPKS3_PKPS1_EvbimT1_T2_lT_lSA_lSB_lT3_lSB_li.has_dyn_sized_stack, 0
	.set _ZL19rocblas_her2_kernelIlLi512EPK19rocblas_complex_numIfEPKS3_PKPS1_EvbimT1_T2_lT_lSA_lSB_lT3_lSB_li.has_recursion, 0
	.set _ZL19rocblas_her2_kernelIlLi512EPK19rocblas_complex_numIfEPKS3_PKPS1_EvbimT1_T2_lT_lSA_lSB_lT3_lSB_li.has_indirect_call, 0
	.section	.AMDGPU.csdata,"",@progbits
; Kernel info:
; codeLenInByte = 1380
; TotalNumSgprs: 26
; NumVgprs: 34
; ScratchSize: 0
; MemoryBound: 0
; FloatMode: 240
; IeeeMode: 1
; LDSByteSize: 0 bytes/workgroup (compile time only)
; SGPRBlocks: 0
; VGPRBlocks: 2
; NumSGPRsForWavesPerEU: 26
; NumVGPRsForWavesPerEU: 34
; NamedBarCnt: 0
; Occupancy: 16
; WaveLimiterHint : 1
; COMPUTE_PGM_RSRC2:SCRATCH_EN: 0
; COMPUTE_PGM_RSRC2:USER_SGPR: 2
; COMPUTE_PGM_RSRC2:TRAP_HANDLER: 0
; COMPUTE_PGM_RSRC2:TGID_X_EN: 1
; COMPUTE_PGM_RSRC2:TGID_Y_EN: 0
; COMPUTE_PGM_RSRC2:TGID_Z_EN: 1
; COMPUTE_PGM_RSRC2:TIDIG_COMP_CNT: 0
	.section	.text._ZL19rocblas_her2_kernelIlLi512E19rocblas_complex_numIfEPKPKS1_PKPS1_EvbimT1_T2_lT_lSA_lSB_lT3_lSB_li,"axG",@progbits,_ZL19rocblas_her2_kernelIlLi512E19rocblas_complex_numIfEPKPKS1_PKPS1_EvbimT1_T2_lT_lSA_lSB_lT3_lSB_li,comdat
	.globl	_ZL19rocblas_her2_kernelIlLi512E19rocblas_complex_numIfEPKPKS1_PKPS1_EvbimT1_T2_lT_lSA_lSB_lT3_lSB_li ; -- Begin function _ZL19rocblas_her2_kernelIlLi512E19rocblas_complex_numIfEPKPKS1_PKPS1_EvbimT1_T2_lT_lSA_lSB_lT3_lSB_li
	.p2align	8
	.type	_ZL19rocblas_her2_kernelIlLi512E19rocblas_complex_numIfEPKPKS1_PKPS1_EvbimT1_T2_lT_lSA_lSB_lT3_lSB_li,@function
_ZL19rocblas_her2_kernelIlLi512E19rocblas_complex_numIfEPKPKS1_PKPS1_EvbimT1_T2_lT_lSA_lSB_lT3_lSB_li: ; @_ZL19rocblas_her2_kernelIlLi512E19rocblas_complex_numIfEPKPKS1_PKPS1_EvbimT1_T2_lT_lSA_lSB_lT3_lSB_li
; %bb.0:
	s_load_b64 s[20:21], s[0:1], 0x10
	s_wait_kmcnt 0x0
	s_cmp_neq_f32 s20, 0
	s_cselect_b32 s2, -1, 0
	s_cmp_neq_f32 s21, 0
	s_cselect_b32 s3, -1, 0
	s_delay_alu instid0(SALU_CYCLE_1) | instskip(NEXT) | instid1(SALU_CYCLE_1)
	s_or_b32 s2, s2, s3
	s_and_not1_b32 vcc_lo, exec_lo, s2
	s_cbranch_vccnz .LBB5_11
; %bb.1:
	s_load_b32 s22, s[0:1], 0x78
	s_bfe_u32 s2, ttmp6, 0x40014
	s_lshr_b32 s3, ttmp7, 16
	s_add_co_i32 s2, s2, 1
	s_bfe_u32 s5, ttmp6, 0x40008
	s_mul_i32 s4, s3, s2
	s_getreg_b32 s2, hwreg(HW_REG_IB_STS2, 6, 4)
	s_add_co_i32 s5, s5, s4
	s_cmp_eq_u32 s2, 0
	s_cselect_b32 s23, s3, s5
	s_wait_kmcnt 0x0
	s_cmp_ge_u32 s23, s22
	s_cbranch_scc1 .LBB5_11
; %bb.2:
	s_clause 0x2
	s_load_b128 s[16:19], s[0:1], 0x0
	s_load_b32 s3, s[0:1], 0x8c
	s_load_b128 s[4:7], s[0:1], 0x18
	s_wait_kmcnt 0x0
	s_bitcmp1_b32 s16, 0
	s_cselect_b32 vcc_lo, -1, 0
	s_bfe_u32 s8, ttmp6, 0x4000c
	s_and_b32 s9, ttmp6, 15
	s_add_co_i32 s8, s8, 1
	v_mov_b32_e32 v1, 0
	s_mul_i32 s8, ttmp9, s8
	s_and_b32 s3, s3, 0xffff
	s_add_co_i32 s9, s9, s8
	s_cmp_eq_u32 s2, 0
	s_cselect_b32 s2, ttmp9, s9
	s_add_co_i32 s8, s17, -1
	v_mad_nc_u64_u32 v[14:15], s3, s2, v[0:1]
	s_lshl_b64 s[6:7], s[6:7], 3
	s_delay_alu instid0(VALU_DEP_1) | instskip(NEXT) | instid1(VALU_DEP_2)
	v_not_b32_e32 v1, v15
	v_not_b32_e32 v0, v14
	s_delay_alu instid0(VALU_DEP_1) | instskip(NEXT) | instid1(VALU_DEP_1)
	v_add_nc_u64_e32 v[0:1], s[18:19], v[0:1]
	v_dual_cndmask_b32 v1, v1, v15 :: v_dual_cndmask_b32 v0, v0, v14
	s_delay_alu instid0(VALU_DEP_1) | instskip(NEXT) | instid1(VALU_DEP_1)
	v_lshlrev_b64_e32 v[2:3], 3, v[0:1]
	v_cvt_f64_u32_e32 v[4:5], v3
	s_delay_alu instid0(VALU_DEP_2) | instskip(NEXT) | instid1(VALU_DEP_1)
	v_or_b32_e32 v1, 1, v2
	v_cvt_f64_u32_e32 v[2:3], v1
	s_delay_alu instid0(VALU_DEP_3) | instskip(NEXT) | instid1(VALU_DEP_1)
	v_ldexp_f64 v[4:5], v[4:5], 32
	v_add_f64_e32 v[2:3], v[4:5], v[2:3]
	s_delay_alu instid0(VALU_DEP_1) | instskip(NEXT) | instid1(VALU_DEP_1)
	v_cmp_gt_f64_e64 s2, 0x10000000, v[2:3]
	v_cndmask_b32_e64 v1, 0, 0x100, s2
	s_delay_alu instid0(VALU_DEP_1) | instskip(SKIP_1) | instid1(VALU_DEP_2)
	v_ldexp_f64 v[2:3], v[2:3], v1
	v_cndmask_b32_e64 v1, 0, 0xffffff80, s2
	v_rsq_f64_e32 v[4:5], v[2:3]
	v_cmp_class_f64_e64 s2, v[2:3], 0x260
	s_delay_alu instid0(TRANS32_DEP_1) | instskip(SKIP_1) | instid1(VALU_DEP_1)
	v_mul_f64_e32 v[6:7], v[2:3], v[4:5]
	v_mul_f64_e32 v[4:5], 0.5, v[4:5]
	v_fma_f64 v[8:9], -v[4:5], v[6:7], 0.5
	s_delay_alu instid0(VALU_DEP_1) | instskip(SKIP_1) | instid1(VALU_DEP_2)
	v_fmac_f64_e32 v[6:7], v[6:7], v[8:9]
	v_fmac_f64_e32 v[4:5], v[4:5], v[8:9]
	v_fma_f64 v[8:9], -v[6:7], v[6:7], v[2:3]
	s_delay_alu instid0(VALU_DEP_1) | instskip(NEXT) | instid1(VALU_DEP_1)
	v_fmac_f64_e32 v[6:7], v[8:9], v[4:5]
	v_fma_f64 v[8:9], -v[6:7], v[6:7], v[2:3]
	s_delay_alu instid0(VALU_DEP_1) | instskip(NEXT) | instid1(VALU_DEP_1)
	v_fmac_f64_e32 v[6:7], v[8:9], v[4:5]
	v_ldexp_f64 v[4:5], v[6:7], v1
	s_delay_alu instid0(VALU_DEP_1)
	v_dual_cndmask_b32 v3, v5, v3, s2 :: v_dual_cndmask_b32 v2, v4, v2, s2
	s_clause 0x2
	s_load_b64 s[2:3], s[0:1], 0x68
	s_load_b64 s[24:25], s[0:1], 0x48
	;; [unrolled: 1-line block ×3, first 2 shown]
	v_add_f64_e32 v[2:3], -1.0, v[2:3]
	s_delay_alu instid0(VALU_DEP_1) | instskip(NEXT) | instid1(VALU_DEP_1)
	v_cvt_i32_f64_e32 v1, v[2:3]
	v_lshrrev_b32_e32 v2, 31, v1
	s_delay_alu instid0(VALU_DEP_1) | instskip(NEXT) | instid1(VALU_DEP_1)
	v_add_nc_u32_e32 v1, v1, v2
	v_ashrrev_i32_e32 v16, 1, v1
	s_delay_alu instid0(VALU_DEP_1) | instskip(NEXT) | instid1(VALU_DEP_1)
	v_dual_add_nc_u32 v2, 1, v16 :: v_dual_ashrrev_i32 v17, 31, v16
	v_ashrrev_i32_e32 v3, 31, v2
	s_delay_alu instid0(VALU_DEP_1) | instskip(NEXT) | instid1(VALU_DEP_1)
	v_mul_u64_e32 v[2:3], v[2:3], v[16:17]
	v_alignbit_b32 v1, v3, v2, 1
	s_delay_alu instid0(VALU_DEP_1) | instskip(NEXT) | instid1(VALU_DEP_1)
	v_dual_sub_nc_u32 v17, v0, v1 :: v_dual_sub_nc_u32 v0, s8, v16
	v_dual_cndmask_b32 v18, v0, v16 :: v_dual_sub_nc_u32 v1, s8, v17
	s_clause 0x1
	s_load_b128 s[8:11], s[0:1], 0x38
	s_load_b128 s[12:15], s[0:1], 0x58
	s_wait_xcnt 0x0
	v_cmp_le_i32_e64 s0, v16, v17
	v_dual_cndmask_b32 v0, v1, v17 :: v_dual_ashrrev_i32 v19, 31, v18
	v_cmp_gt_u64_e32 vcc_lo, s[18:19], v[14:15]
	s_delay_alu instid0(VALU_DEP_2) | instskip(SKIP_1) | instid1(VALU_DEP_3)
	v_ashrrev_i32_e32 v1, 31, v0
	s_wait_kmcnt 0x0
	v_mul_u64_e32 v[2:3], s[24:25], v[18:19]
	v_mul_u64_e32 v[4:5], s[26:27], v[18:19]
	;; [unrolled: 1-line block ×3, first 2 shown]
	v_cmp_eq_u32_e64 s1, v0, v18
	v_mul_u64_e32 v[6:7], s[2:3], v[0:1]
	v_mul_u64_e32 v[8:9], s[26:27], v[0:1]
	;; [unrolled: 1-line block ×3, first 2 shown]
	s_mov_b32 s2, s21
	s_mov_b32 s3, s20
	s_lshl_b64 s[10:11], s[10:11], 3
	s_lshl_b64 s[14:15], s[14:15], 3
	s_branch .LBB5_4
.LBB5_3:                                ;   in Loop: Header=BB5_4 Depth=1
	s_wait_xcnt 0x0
	s_or_b32 exec_lo, exec_lo, s16
	s_add_co_i32 s23, s23, 0x10000
	s_delay_alu instid0(SALU_CYCLE_1)
	s_cmp_lt_u32 s23, s22
	s_cbranch_scc0 .LBB5_11
.LBB5_4:                                ; =>This Inner Loop Header: Depth=1
	s_and_saveexec_b32 s16, vcc_lo
	s_cbranch_execz .LBB5_3
; %bb.5:                                ;   in Loop: Header=BB5_4 Depth=1
	v_mov_b32_e32 v20, s23
	s_clause 0x2
	global_load_b64 v[14:15], v20, s[12:13] scale_offset
	global_load_b64 v[16:17], v20, s[4:5] scale_offset
	;; [unrolled: 1-line block ×3, first 2 shown]
	s_wait_loadcnt 0x2
	v_add_nc_u64_e32 v[14:15], s[14:15], v[14:15]
	s_wait_loadcnt 0x1
	v_add_nc_u64_e32 v[16:17], s[6:7], v[16:17]
	s_wait_loadcnt 0x0
	v_add_nc_u64_e32 v[18:19], s[10:11], v[18:19]
	s_wait_xcnt 0x0
	s_and_saveexec_b32 s17, s0
	s_delay_alu instid0(SALU_CYCLE_1)
	s_xor_b32 s17, exec_lo, s17
	s_cbranch_execz .LBB5_9
; %bb.6:                                ;   in Loop: Header=BB5_4 Depth=1
	s_and_saveexec_b32 s18, s1
	s_cbranch_execz .LBB5_8
; %bb.7:                                ;   in Loop: Header=BB5_4 Depth=1
	v_lshl_add_u64 v[16:17], v[8:9], 3, v[16:17]
	v_lshl_add_u64 v[18:19], v[10:11], 3, v[18:19]
	;; [unrolled: 1-line block ×3, first 2 shown]
	v_mov_b64_e32 v[20:21], s[20:21]
	v_mov_b64_e32 v[22:23], s[2:3]
	flat_load_b64 v[16:17], v[16:17]
	flat_load_b64 v[18:19], v[18:19]
	v_lshl_add_u64 v[14:15], v[0:1], 3, v[14:15]
	flat_load_b32 v30, v[14:15]
	s_wait_loadcnt_dscnt 0x202
	v_pk_mul_f32 v[24:25], v[20:21], v[16:17] op_sel:[0,1]
	s_delay_alu instid0(VALU_DEP_1) | instskip(SKIP_4) | instid1(VALU_DEP_3)
	v_pk_fma_f32 v[26:27], v[22:23], v[16:17], v[24:25] op_sel_hi:[1,0,1] neg_lo:[0,0,1] neg_hi:[0,0,1]
	v_pk_fma_f32 v[22:23], v[22:23], v[16:17], v[24:25] op_sel_hi:[1,0,1]
	s_wait_loadcnt_dscnt 0x101
	v_pk_mul_f32 v[24:25], v[20:21], v[18:19]
	v_pk_mul_f32 v[20:21], v[20:21], v[18:19] op_sel:[0,1] op_sel_hi:[1,0]
	v_dual_mov_b32 v28, v27 :: v_dual_mov_b32 v29, v22
	s_delay_alu instid0(VALU_DEP_3) | instskip(NEXT) | instid1(VALU_DEP_3)
	v_dual_add_f32 v24, v24, v25 :: v_dual_mov_b32 v23, v27
	v_pk_add_f32 v[20:21], v[20:21], v[20:21] op_sel:[0,1] op_sel_hi:[0,1] neg_lo:[0,1] neg_hi:[0,1]
	s_delay_alu instid0(VALU_DEP_3) | instskip(NEXT) | instid1(VALU_DEP_3)
	v_pk_mul_f32 v[28:29], v[18:19], v[28:29]
	v_pk_mul_f32 v[24:25], v[16:17], v[24:25] op_sel_hi:[1,0]
	s_delay_alu instid0(VALU_DEP_2) | instskip(NEXT) | instid1(VALU_DEP_2)
	v_dual_mul_f32 v26, v18, v22 :: v_dual_add_f32 v27, v28, v29
	v_pk_fma_f32 v[28:29], v[16:17], v[20:21], v[24:25] op_sel:[1,0,0] op_sel_hi:[0,1,1] neg_lo:[0,0,1] neg_hi:[0,0,1]
	s_wait_xcnt 0x2
	v_pk_fma_f32 v[16:17], v[16:17], v[20:21], v[24:25] op_sel:[1,0,0] op_sel_hi:[0,1,1]
	s_wait_xcnt 0x1
	v_pk_fma_f32 v[18:19], v[18:19], v[22:23], v[26:27] op_sel_hi:[1,1,0] neg_lo:[1,0,0] neg_hi:[1,0,0]
	s_wait_loadcnt_dscnt 0x0
	v_dual_add_f32 v18, v30, v27 :: v_dual_mov_b32 v17, v29
	s_delay_alu instid0(VALU_DEP_1)
	v_pk_add_f32 v[16:17], v[18:19], v[16:17]
	flat_store_b64 v[14:15], v[16:17]
.LBB5_8:                                ;   in Loop: Header=BB5_4 Depth=1
	s_wait_xcnt 0x0
	s_or_b32 exec_lo, exec_lo, s18
                                        ; implicit-def: $vgpr16_vgpr17
                                        ; implicit-def: $vgpr18_vgpr19
                                        ; implicit-def: $vgpr14_vgpr15
.LBB5_9:                                ;   in Loop: Header=BB5_4 Depth=1
	s_and_not1_saveexec_b32 s17, s17
	s_cbranch_execz .LBB5_3
; %bb.10:                               ;   in Loop: Header=BB5_4 Depth=1
	v_lshl_add_u64 v[20:21], v[8:9], 3, v[16:17]
	v_lshl_add_u64 v[22:23], v[10:11], 3, v[18:19]
	;; [unrolled: 1-line block ×5, first 2 shown]
	flat_load_b64 v[24:25], v[20:21]
	s_clause 0x1
	flat_load_b64 v[26:27], v[22:23]
	flat_load_b64 v[20:21], v[18:19]
	;; [unrolled: 1-line block ×3, first 2 shown]
	s_wait_xcnt 0x1
	v_mov_b64_e32 v[18:19], s[20:21]
	v_lshl_add_u64 v[14:15], v[0:1], 3, v[14:15]
	v_mov_b64_e32 v[28:29], s[2:3]
	flat_load_b64 v[16:17], v[14:15]
	s_wait_loadcnt_dscnt 0x404
	v_pk_mul_f32 v[30:31], v[18:19], v[24:25]
	s_wait_loadcnt_dscnt 0x303
	v_pk_mul_f32 v[32:33], v[18:19], v[26:27]
	v_pk_mul_f32 v[24:25], v[28:29], v[24:25]
	v_pk_mul_f32 v[18:19], v[18:19], v[26:27] op_sel:[0,1] op_sel_hi:[1,0]
	v_pk_add_f32 v[26:27], v[30:31], v[30:31] op_sel:[0,1] op_sel_hi:[0,1] neg_lo:[0,1] neg_hi:[0,1]
	s_delay_alu instid0(VALU_DEP_3) | instskip(NEXT) | instid1(VALU_DEP_3)
	v_add_f32_e32 v24, v24, v25
	v_pk_add_f32 v[18:19], v[18:19], v[18:19] op_sel:[0,1] op_sel_hi:[0,1] neg_lo:[0,1] neg_hi:[0,1]
	s_wait_loadcnt_dscnt 0x202
	s_delay_alu instid0(VALU_DEP_3) | instskip(NEXT) | instid1(VALU_DEP_1)
	v_pk_mul_f32 v[26:27], v[20:21], v[26:27]
	v_pk_fma_f32 v[30:31], v[20:21], v[24:25], v[26:27] op_sel:[1,0,0] op_sel_hi:[0,0,1] neg_lo:[0,0,1] neg_hi:[0,0,1]
	v_add_f32_e32 v28, v32, v33
	v_pk_fma_f32 v[20:21], v[20:21], v[24:25], v[26:27] op_sel:[1,0,0] op_sel_hi:[0,0,1]
	s_delay_alu instid0(VALU_DEP_3) | instskip(SKIP_1) | instid1(VALU_DEP_3)
	v_mov_b32_e32 v21, v31
	s_wait_loadcnt_dscnt 0x101
	v_pk_mul_f32 v[28:29], v[22:23], v[28:29] op_sel_hi:[1,0]
	s_delay_alu instid0(VALU_DEP_1) | instskip(SKIP_1) | instid1(VALU_DEP_2)
	v_pk_fma_f32 v[32:33], v[22:23], v[18:19], v[28:29] op_sel:[1,0,0] op_sel_hi:[0,1,1] neg_lo:[0,0,1] neg_hi:[0,0,1]
	v_pk_fma_f32 v[18:19], v[22:23], v[18:19], v[28:29] op_sel:[1,0,0] op_sel_hi:[0,1,1]
	v_mov_b32_e32 v19, v33
	s_delay_alu instid0(VALU_DEP_1) | instskip(SKIP_1) | instid1(VALU_DEP_1)
	v_pk_add_f32 v[18:19], v[20:21], v[18:19]
	s_wait_loadcnt_dscnt 0x0
	v_pk_add_f32 v[16:17], v[16:17], v[18:19]
	flat_store_b64 v[14:15], v[16:17]
	s_branch .LBB5_3
.LBB5_11:
	s_endpgm
	.section	.rodata,"a",@progbits
	.p2align	6, 0x0
	.amdhsa_kernel _ZL19rocblas_her2_kernelIlLi512E19rocblas_complex_numIfEPKPKS1_PKPS1_EvbimT1_T2_lT_lSA_lSB_lT3_lSB_li
		.amdhsa_group_segment_fixed_size 0
		.amdhsa_private_segment_fixed_size 0
		.amdhsa_kernarg_size 384
		.amdhsa_user_sgpr_count 2
		.amdhsa_user_sgpr_dispatch_ptr 0
		.amdhsa_user_sgpr_queue_ptr 0
		.amdhsa_user_sgpr_kernarg_segment_ptr 1
		.amdhsa_user_sgpr_dispatch_id 0
		.amdhsa_user_sgpr_kernarg_preload_length 0
		.amdhsa_user_sgpr_kernarg_preload_offset 0
		.amdhsa_user_sgpr_private_segment_size 0
		.amdhsa_wavefront_size32 1
		.amdhsa_uses_dynamic_stack 0
		.amdhsa_enable_private_segment 0
		.amdhsa_system_sgpr_workgroup_id_x 1
		.amdhsa_system_sgpr_workgroup_id_y 0
		.amdhsa_system_sgpr_workgroup_id_z 1
		.amdhsa_system_sgpr_workgroup_info 0
		.amdhsa_system_vgpr_workitem_id 0
		.amdhsa_next_free_vgpr 34
		.amdhsa_next_free_sgpr 28
		.amdhsa_named_barrier_count 0
		.amdhsa_reserve_vcc 1
		.amdhsa_float_round_mode_32 0
		.amdhsa_float_round_mode_16_64 0
		.amdhsa_float_denorm_mode_32 3
		.amdhsa_float_denorm_mode_16_64 3
		.amdhsa_fp16_overflow 0
		.amdhsa_memory_ordered 1
		.amdhsa_forward_progress 1
		.amdhsa_inst_pref_size 11
		.amdhsa_round_robin_scheduling 0
		.amdhsa_exception_fp_ieee_invalid_op 0
		.amdhsa_exception_fp_denorm_src 0
		.amdhsa_exception_fp_ieee_div_zero 0
		.amdhsa_exception_fp_ieee_overflow 0
		.amdhsa_exception_fp_ieee_underflow 0
		.amdhsa_exception_fp_ieee_inexact 0
		.amdhsa_exception_int_div_zero 0
	.end_amdhsa_kernel
	.section	.text._ZL19rocblas_her2_kernelIlLi512E19rocblas_complex_numIfEPKPKS1_PKPS1_EvbimT1_T2_lT_lSA_lSB_lT3_lSB_li,"axG",@progbits,_ZL19rocblas_her2_kernelIlLi512E19rocblas_complex_numIfEPKPKS1_PKPS1_EvbimT1_T2_lT_lSA_lSB_lT3_lSB_li,comdat
.Lfunc_end5:
	.size	_ZL19rocblas_her2_kernelIlLi512E19rocblas_complex_numIfEPKPKS1_PKPS1_EvbimT1_T2_lT_lSA_lSB_lT3_lSB_li, .Lfunc_end5-_ZL19rocblas_her2_kernelIlLi512E19rocblas_complex_numIfEPKPKS1_PKPS1_EvbimT1_T2_lT_lSA_lSB_lT3_lSB_li
                                        ; -- End function
	.set _ZL19rocblas_her2_kernelIlLi512E19rocblas_complex_numIfEPKPKS1_PKPS1_EvbimT1_T2_lT_lSA_lSB_lT3_lSB_li.num_vgpr, 34
	.set _ZL19rocblas_her2_kernelIlLi512E19rocblas_complex_numIfEPKPKS1_PKPS1_EvbimT1_T2_lT_lSA_lSB_lT3_lSB_li.num_agpr, 0
	.set _ZL19rocblas_her2_kernelIlLi512E19rocblas_complex_numIfEPKPKS1_PKPS1_EvbimT1_T2_lT_lSA_lSB_lT3_lSB_li.numbered_sgpr, 28
	.set _ZL19rocblas_her2_kernelIlLi512E19rocblas_complex_numIfEPKPKS1_PKPS1_EvbimT1_T2_lT_lSA_lSB_lT3_lSB_li.num_named_barrier, 0
	.set _ZL19rocblas_her2_kernelIlLi512E19rocblas_complex_numIfEPKPKS1_PKPS1_EvbimT1_T2_lT_lSA_lSB_lT3_lSB_li.private_seg_size, 0
	.set _ZL19rocblas_her2_kernelIlLi512E19rocblas_complex_numIfEPKPKS1_PKPS1_EvbimT1_T2_lT_lSA_lSB_lT3_lSB_li.uses_vcc, 1
	.set _ZL19rocblas_her2_kernelIlLi512E19rocblas_complex_numIfEPKPKS1_PKPS1_EvbimT1_T2_lT_lSA_lSB_lT3_lSB_li.uses_flat_scratch, 1
	.set _ZL19rocblas_her2_kernelIlLi512E19rocblas_complex_numIfEPKPKS1_PKPS1_EvbimT1_T2_lT_lSA_lSB_lT3_lSB_li.has_dyn_sized_stack, 0
	.set _ZL19rocblas_her2_kernelIlLi512E19rocblas_complex_numIfEPKPKS1_PKPS1_EvbimT1_T2_lT_lSA_lSB_lT3_lSB_li.has_recursion, 0
	.set _ZL19rocblas_her2_kernelIlLi512E19rocblas_complex_numIfEPKPKS1_PKPS1_EvbimT1_T2_lT_lSA_lSB_lT3_lSB_li.has_indirect_call, 0
	.section	.AMDGPU.csdata,"",@progbits
; Kernel info:
; codeLenInByte = 1372
; TotalNumSgprs: 30
; NumVgprs: 34
; ScratchSize: 0
; MemoryBound: 0
; FloatMode: 240
; IeeeMode: 1
; LDSByteSize: 0 bytes/workgroup (compile time only)
; SGPRBlocks: 0
; VGPRBlocks: 2
; NumSGPRsForWavesPerEU: 30
; NumVGPRsForWavesPerEU: 34
; NamedBarCnt: 0
; Occupancy: 16
; WaveLimiterHint : 1
; COMPUTE_PGM_RSRC2:SCRATCH_EN: 0
; COMPUTE_PGM_RSRC2:USER_SGPR: 2
; COMPUTE_PGM_RSRC2:TRAP_HANDLER: 0
; COMPUTE_PGM_RSRC2:TGID_X_EN: 1
; COMPUTE_PGM_RSRC2:TGID_Y_EN: 0
; COMPUTE_PGM_RSRC2:TGID_Z_EN: 1
; COMPUTE_PGM_RSRC2:TIDIG_COMP_CNT: 0
	.section	.text._ZL19rocblas_her2_kernelIlLi512EPK19rocblas_complex_numIdEPKS3_PKPS1_EvbimT1_T2_lT_lSA_lSB_lT3_lSB_li,"axG",@progbits,_ZL19rocblas_her2_kernelIlLi512EPK19rocblas_complex_numIdEPKS3_PKPS1_EvbimT1_T2_lT_lSA_lSB_lT3_lSB_li,comdat
	.globl	_ZL19rocblas_her2_kernelIlLi512EPK19rocblas_complex_numIdEPKS3_PKPS1_EvbimT1_T2_lT_lSA_lSB_lT3_lSB_li ; -- Begin function _ZL19rocblas_her2_kernelIlLi512EPK19rocblas_complex_numIdEPKS3_PKPS1_EvbimT1_T2_lT_lSA_lSB_lT3_lSB_li
	.p2align	8
	.type	_ZL19rocblas_her2_kernelIlLi512EPK19rocblas_complex_numIdEPKS3_PKPS1_EvbimT1_T2_lT_lSA_lSB_lT3_lSB_li,@function
_ZL19rocblas_her2_kernelIlLi512EPK19rocblas_complex_numIdEPKS3_PKPS1_EvbimT1_T2_lT_lSA_lSB_lT3_lSB_li: ; @_ZL19rocblas_her2_kernelIlLi512EPK19rocblas_complex_numIdEPKS3_PKPS1_EvbimT1_T2_lT_lSA_lSB_lT3_lSB_li
; %bb.0:
	s_load_b256 s[4:11], s[0:1], 0x8
	s_wait_kmcnt 0x0
	s_load_b128 s[12:15], s[6:7], 0x0
	s_wait_kmcnt 0x0
	v_cmp_neq_f64_e64 s2, s[12:13], 0
	v_cmp_neq_f64_e64 s3, s[14:15], 0
	s_or_b32 s2, s2, s3
	s_delay_alu instid0(SALU_CYCLE_1)
	s_and_not1_b32 vcc_lo, exec_lo, s2
	s_cbranch_vccnz .LBB6_11
; %bb.1:
	s_load_b32 s24, s[0:1], 0x78
	s_bfe_u32 s2, ttmp6, 0x40014
	s_lshr_b32 s3, ttmp7, 16
	s_add_co_i32 s2, s2, 1
	s_bfe_u32 s7, ttmp6, 0x40008
	s_mul_i32 s2, s3, s2
	s_getreg_b32 s6, hwreg(HW_REG_IB_STS2, 6, 4)
	s_add_co_i32 s7, s7, s2
	s_cmp_eq_u32 s6, 0
	s_cselect_b32 s25, s3, s7
	s_wait_kmcnt 0x0
	s_cmp_ge_u32 s25, s24
	s_cbranch_scc1 .LBB6_11
; %bb.2:
	s_clause 0x1
	s_load_b64 s[2:3], s[0:1], 0x0
	s_load_b32 s7, s[0:1], 0x8c
	s_wait_kmcnt 0x0
	s_bitcmp1_b32 s2, 0
	s_cselect_b32 vcc_lo, -1, 0
	s_bfe_u32 s2, ttmp6, 0x4000c
	s_and_b32 s16, ttmp6, 15
	s_add_co_i32 s2, s2, 1
	v_mov_b32_e32 v1, 0
	s_mul_i32 s2, ttmp9, s2
	s_and_b32 s7, s7, 0xffff
	s_add_co_i32 s16, s16, s2
	s_cmp_eq_u32 s6, 0
	s_cselect_b32 s2, ttmp9, s16
	s_load_b128 s[16:19], s[0:1], 0x58
	v_mad_nc_u64_u32 v[14:15], s7, s2, v[0:1]
	s_clause 0x2
	s_load_b64 s[6:7], s[0:1], 0x28
	s_load_b64 s[20:21], s[0:1], 0x48
	;; [unrolled: 1-line block ×3, first 2 shown]
	s_delay_alu instid0(VALU_DEP_1) | instskip(NEXT) | instid1(VALU_DEP_2)
	v_not_b32_e32 v1, v15
	v_not_b32_e32 v0, v14
	s_delay_alu instid0(VALU_DEP_1) | instskip(NEXT) | instid1(VALU_DEP_1)
	v_add_nc_u64_e32 v[0:1], s[4:5], v[0:1]
	v_dual_cndmask_b32 v1, v1, v15 :: v_dual_cndmask_b32 v0, v0, v14
	s_delay_alu instid0(VALU_DEP_1) | instskip(NEXT) | instid1(VALU_DEP_1)
	v_lshlrev_b64_e32 v[2:3], 3, v[0:1]
	v_cvt_f64_u32_e32 v[4:5], v3
	s_delay_alu instid0(VALU_DEP_2) | instskip(NEXT) | instid1(VALU_DEP_1)
	v_or_b32_e32 v1, 1, v2
	v_cvt_f64_u32_e32 v[2:3], v1
	s_delay_alu instid0(VALU_DEP_3) | instskip(NEXT) | instid1(VALU_DEP_1)
	v_ldexp_f64 v[4:5], v[4:5], 32
	v_add_f64_e32 v[2:3], v[4:5], v[2:3]
	s_delay_alu instid0(VALU_DEP_1) | instskip(NEXT) | instid1(VALU_DEP_1)
	v_cmp_gt_f64_e64 s2, 0x10000000, v[2:3]
	v_cndmask_b32_e64 v1, 0, 0x100, s2
	s_delay_alu instid0(VALU_DEP_1) | instskip(SKIP_1) | instid1(VALU_DEP_2)
	v_ldexp_f64 v[2:3], v[2:3], v1
	v_cndmask_b32_e64 v1, 0, 0xffffff80, s2
	v_rsq_f64_e32 v[4:5], v[2:3]
	v_cmp_class_f64_e64 s2, v[2:3], 0x260
	s_delay_alu instid0(TRANS32_DEP_1) | instskip(SKIP_1) | instid1(VALU_DEP_1)
	v_mul_f64_e32 v[6:7], v[2:3], v[4:5]
	v_mul_f64_e32 v[4:5], 0.5, v[4:5]
	v_fma_f64 v[8:9], -v[4:5], v[6:7], 0.5
	s_delay_alu instid0(VALU_DEP_1) | instskip(SKIP_1) | instid1(VALU_DEP_2)
	v_fmac_f64_e32 v[6:7], v[6:7], v[8:9]
	v_fmac_f64_e32 v[4:5], v[4:5], v[8:9]
	v_fma_f64 v[8:9], -v[6:7], v[6:7], v[2:3]
	s_delay_alu instid0(VALU_DEP_1) | instskip(NEXT) | instid1(VALU_DEP_1)
	v_fmac_f64_e32 v[6:7], v[8:9], v[4:5]
	v_fma_f64 v[8:9], -v[6:7], v[6:7], v[2:3]
	s_delay_alu instid0(VALU_DEP_1) | instskip(NEXT) | instid1(VALU_DEP_1)
	v_fmac_f64_e32 v[6:7], v[8:9], v[4:5]
	v_ldexp_f64 v[4:5], v[6:7], v1
	s_delay_alu instid0(VALU_DEP_1) | instskip(SKIP_1) | instid1(VALU_DEP_1)
	v_dual_cndmask_b32 v3, v5, v3, s2 :: v_dual_cndmask_b32 v2, v4, v2, s2
	s_add_co_i32 s2, s3, -1
	v_add_f64_e32 v[2:3], -1.0, v[2:3]
	s_delay_alu instid0(VALU_DEP_1) | instskip(NEXT) | instid1(VALU_DEP_1)
	v_cvt_i32_f64_e32 v1, v[2:3]
	v_lshrrev_b32_e32 v2, 31, v1
	s_delay_alu instid0(VALU_DEP_1) | instskip(NEXT) | instid1(VALU_DEP_1)
	v_add_nc_u32_e32 v1, v1, v2
	v_ashrrev_i32_e32 v16, 1, v1
	s_delay_alu instid0(VALU_DEP_1) | instskip(NEXT) | instid1(VALU_DEP_1)
	v_dual_add_nc_u32 v2, 1, v16 :: v_dual_ashrrev_i32 v17, 31, v16
	v_ashrrev_i32_e32 v3, 31, v2
	s_delay_alu instid0(VALU_DEP_1) | instskip(NEXT) | instid1(VALU_DEP_1)
	v_mul_u64_e32 v[2:3], v[2:3], v[16:17]
	v_alignbit_b32 v1, v3, v2, 1
	s_delay_alu instid0(VALU_DEP_1) | instskip(NEXT) | instid1(VALU_DEP_1)
	v_dual_sub_nc_u32 v17, v0, v1 :: v_dual_sub_nc_u32 v0, s2, v16
	v_dual_cndmask_b32 v18, v0, v16 :: v_dual_sub_nc_u32 v1, s2, v17
	s_delay_alu instid0(VALU_DEP_1) | instskip(SKIP_2) | instid1(VALU_DEP_2)
	v_dual_cndmask_b32 v0, v1, v17 :: v_dual_ashrrev_i32 v19, 31, v18
	v_cmp_gt_u64_e32 vcc_lo, s[4:5], v[14:15]
	s_lshl_b64 s[4:5], s[10:11], 4
	v_ashrrev_i32_e32 v1, 31, v0
	s_wait_kmcnt 0x0
	v_mul_u64_e32 v[2:3], s[20:21], v[18:19]
	v_mul_u64_e32 v[4:5], s[6:7], v[18:19]
	;; [unrolled: 1-line block ×6, first 2 shown]
	s_load_b128 s[20:23], s[0:1], 0x38
	s_wait_xcnt 0x0
	v_cmp_le_i32_e64 s0, v16, v17
	v_cmp_eq_u32_e64 s1, v0, v18
	s_lshl_b64 s[2:3], s[18:19], 4
	s_wait_kmcnt 0x0
	s_lshl_b64 s[6:7], s[22:23], 4
	s_branch .LBB6_4
.LBB6_3:                                ;   in Loop: Header=BB6_4 Depth=1
	s_wait_xcnt 0x0
	s_or_b32 exec_lo, exec_lo, s26
	s_add_co_i32 s25, s25, 0x10000
	s_delay_alu instid0(SALU_CYCLE_1)
	s_cmp_lt_u32 s25, s24
	s_cbranch_scc0 .LBB6_11
.LBB6_4:                                ; =>This Inner Loop Header: Depth=1
	s_and_saveexec_b32 s26, vcc_lo
	s_cbranch_execz .LBB6_3
; %bb.5:                                ;   in Loop: Header=BB6_4 Depth=1
	s_load_b64 s[10:11], s[16:17], s25 offset:0x0 scale_offset
	s_load_b64 s[18:19], s[8:9], s25 offset:0x0 scale_offset
	;; [unrolled: 1-line block ×3, first 2 shown]
	s_wait_kmcnt 0x0
	s_add_nc_u64 s[10:11], s[10:11], s[2:3]
	s_add_nc_u64 s[18:19], s[18:19], s[4:5]
	;; [unrolled: 1-line block ×3, first 2 shown]
	s_and_saveexec_b32 s27, s0
	s_delay_alu instid0(SALU_CYCLE_1)
	s_xor_b32 s27, exec_lo, s27
	s_cbranch_execz .LBB6_9
; %bb.6:                                ;   in Loop: Header=BB6_4 Depth=1
	s_and_saveexec_b32 s28, s1
	s_cbranch_execz .LBB6_8
; %bb.7:                                ;   in Loop: Header=BB6_4 Depth=1
	v_lshl_add_u64 v[14:15], v[8:9], 4, s[18:19]
	v_lshl_add_u64 v[18:19], v[10:11], 4, s[22:23]
	;; [unrolled: 1-line block ×3, first 2 shown]
	flat_load_b128 v[14:17], v[14:15]
	flat_load_b128 v[18:21], v[18:19]
	v_lshl_add_u64 v[22:23], v[0:1], 4, v[22:23]
	flat_load_b64 v[24:25], v[22:23]
	s_wait_loadcnt_dscnt 0x202
	v_mul_f64_e32 v[26:27], s[12:13], v[16:17]
	v_mul_f64_e32 v[28:29], s[14:15], v[16:17]
	s_wait_loadcnt_dscnt 0x101
	v_mul_f64_e32 v[30:31], s[14:15], v[18:19]
	v_mul_f64_e32 v[32:33], s[14:15], v[20:21]
	s_delay_alu instid0(VALU_DEP_4) | instskip(NEXT) | instid1(VALU_DEP_4)
	v_fmac_f64_e32 v[26:27], s[14:15], v[14:15]
	v_fma_f64 v[28:29], s[12:13], v[14:15], -v[28:29]
	s_delay_alu instid0(VALU_DEP_4) | instskip(NEXT) | instid1(VALU_DEP_4)
	v_fma_f64 v[30:31], s[12:13], v[20:21], -v[30:31]
	v_fmac_f64_e32 v[32:33], s[12:13], v[18:19]
	s_delay_alu instid0(VALU_DEP_4) | instskip(NEXT) | instid1(VALU_DEP_4)
	v_mul_f64_e32 v[34:35], v[20:21], v[26:27]
	v_mul_f64_e32 v[20:21], v[20:21], v[28:29]
	s_delay_alu instid0(VALU_DEP_4) | instskip(NEXT) | instid1(VALU_DEP_4)
	v_mul_f64_e32 v[36:37], v[16:17], v[30:31]
	v_mul_f64_e32 v[16:17], v[16:17], v[32:33]
	s_delay_alu instid0(VALU_DEP_4) | instskip(SKIP_1) | instid1(VALU_DEP_4)
	v_fmac_f64_e32 v[34:35], v[18:19], v[28:29]
	s_wait_xcnt 0x1
	v_fma_f64 v[18:19], v[18:19], v[26:27], -v[20:21]
	s_delay_alu instid0(VALU_DEP_4) | instskip(NEXT) | instid1(VALU_DEP_4)
	v_fmac_f64_e32 v[36:37], v[14:15], v[32:33]
	v_fma_f64 v[16:17], v[14:15], v[30:31], -v[16:17]
	s_wait_loadcnt_dscnt 0x0
	s_delay_alu instid0(VALU_DEP_4) | instskip(NEXT) | instid1(VALU_DEP_2)
	v_add_f64_e32 v[20:21], v[24:25], v[34:35]
	v_add_f64_e32 v[16:17], v[18:19], v[16:17]
	s_delay_alu instid0(VALU_DEP_2)
	v_add_f64_e32 v[14:15], v[20:21], v[36:37]
	flat_store_b128 v[22:23], v[14:17]
.LBB6_8:                                ;   in Loop: Header=BB6_4 Depth=1
	s_wait_xcnt 0x0
	s_or_b32 exec_lo, exec_lo, s28
.LBB6_9:                                ;   in Loop: Header=BB6_4 Depth=1
	s_and_not1_saveexec_b32 s27, s27
	s_cbranch_execz .LBB6_3
; %bb.10:                               ;   in Loop: Header=BB6_4 Depth=1
	v_lshl_add_u64 v[22:23], v[8:9], 4, s[18:19]
	v_lshl_add_u64 v[24:25], v[10:11], 4, s[22:23]
	;; [unrolled: 1-line block ×4, first 2 shown]
	flat_load_b128 v[14:17], v[22:23]
	s_clause 0x1
	flat_load_b128 v[18:21], v[24:25]
	flat_load_b128 v[22:25], v[30:31]
	;; [unrolled: 1-line block ×3, first 2 shown]
	s_wait_xcnt 0x1
	v_lshl_add_u64 v[30:31], v[12:13], 4, s[10:11]
	s_delay_alu instid0(VALU_DEP_1)
	v_lshl_add_u64 v[34:35], v[0:1], 4, v[30:31]
	flat_load_b128 v[30:33], v[34:35]
	s_wait_loadcnt_dscnt 0x404
	v_mul_f64_e32 v[36:37], s[12:13], v[16:17]
	v_mul_f64_e32 v[16:17], s[14:15], v[16:17]
	s_wait_loadcnt_dscnt 0x303
	v_mul_f64_e32 v[38:39], s[14:15], v[18:19]
	v_mul_f64_e32 v[40:41], s[14:15], v[20:21]
	s_delay_alu instid0(VALU_DEP_4) | instskip(NEXT) | instid1(VALU_DEP_4)
	v_fmac_f64_e32 v[36:37], s[14:15], v[14:15]
	v_fma_f64 v[14:15], s[12:13], v[14:15], -v[16:17]
	s_delay_alu instid0(VALU_DEP_4) | instskip(NEXT) | instid1(VALU_DEP_4)
	v_fma_f64 v[16:17], s[12:13], v[20:21], -v[38:39]
	v_fmac_f64_e32 v[40:41], s[12:13], v[18:19]
	s_wait_loadcnt_dscnt 0x202
	s_delay_alu instid0(VALU_DEP_4) | instskip(NEXT) | instid1(VALU_DEP_4)
	v_mul_f64_e32 v[18:19], v[24:25], v[36:37]
	v_mul_f64_e32 v[20:21], v[24:25], v[14:15]
	s_wait_loadcnt_dscnt 0x101
	s_delay_alu instid0(VALU_DEP_4) | instskip(NEXT) | instid1(VALU_DEP_4)
	v_mul_f64_e32 v[24:25], v[28:29], v[16:17]
	v_mul_f64_e32 v[28:29], v[28:29], v[40:41]
	s_delay_alu instid0(VALU_DEP_4) | instskip(NEXT) | instid1(VALU_DEP_4)
	v_fmac_f64_e32 v[18:19], v[22:23], v[14:15]
	v_fma_f64 v[14:15], v[22:23], v[36:37], -v[20:21]
	s_delay_alu instid0(VALU_DEP_4) | instskip(NEXT) | instid1(VALU_DEP_4)
	v_fmac_f64_e32 v[24:25], v[26:27], v[40:41]
	v_fma_f64 v[16:17], v[26:27], v[16:17], -v[28:29]
	s_delay_alu instid0(VALU_DEP_2) | instskip(NEXT) | instid1(VALU_DEP_2)
	v_add_f64_e32 v[18:19], v[18:19], v[24:25]
	v_add_f64_e32 v[16:17], v[14:15], v[16:17]
	s_wait_loadcnt_dscnt 0x0
	s_delay_alu instid0(VALU_DEP_2) | instskip(NEXT) | instid1(VALU_DEP_2)
	v_add_f64_e32 v[14:15], v[30:31], v[18:19]
	v_add_f64_e32 v[16:17], v[32:33], v[16:17]
	flat_store_b128 v[34:35], v[14:17]
	s_branch .LBB6_3
.LBB6_11:
	s_endpgm
	.section	.rodata,"a",@progbits
	.p2align	6, 0x0
	.amdhsa_kernel _ZL19rocblas_her2_kernelIlLi512EPK19rocblas_complex_numIdEPKS3_PKPS1_EvbimT1_T2_lT_lSA_lSB_lT3_lSB_li
		.amdhsa_group_segment_fixed_size 0
		.amdhsa_private_segment_fixed_size 0
		.amdhsa_kernarg_size 384
		.amdhsa_user_sgpr_count 2
		.amdhsa_user_sgpr_dispatch_ptr 0
		.amdhsa_user_sgpr_queue_ptr 0
		.amdhsa_user_sgpr_kernarg_segment_ptr 1
		.amdhsa_user_sgpr_dispatch_id 0
		.amdhsa_user_sgpr_kernarg_preload_length 0
		.amdhsa_user_sgpr_kernarg_preload_offset 0
		.amdhsa_user_sgpr_private_segment_size 0
		.amdhsa_wavefront_size32 1
		.amdhsa_uses_dynamic_stack 0
		.amdhsa_enable_private_segment 0
		.amdhsa_system_sgpr_workgroup_id_x 1
		.amdhsa_system_sgpr_workgroup_id_y 0
		.amdhsa_system_sgpr_workgroup_id_z 1
		.amdhsa_system_sgpr_workgroup_info 0
		.amdhsa_system_vgpr_workitem_id 0
		.amdhsa_next_free_vgpr 42
		.amdhsa_next_free_sgpr 29
		.amdhsa_named_barrier_count 0
		.amdhsa_reserve_vcc 1
		.amdhsa_float_round_mode_32 0
		.amdhsa_float_round_mode_16_64 0
		.amdhsa_float_denorm_mode_32 3
		.amdhsa_float_denorm_mode_16_64 3
		.amdhsa_fp16_overflow 0
		.amdhsa_memory_ordered 1
		.amdhsa_forward_progress 1
		.amdhsa_inst_pref_size 10
		.amdhsa_round_robin_scheduling 0
		.amdhsa_exception_fp_ieee_invalid_op 0
		.amdhsa_exception_fp_denorm_src 0
		.amdhsa_exception_fp_ieee_div_zero 0
		.amdhsa_exception_fp_ieee_overflow 0
		.amdhsa_exception_fp_ieee_underflow 0
		.amdhsa_exception_fp_ieee_inexact 0
		.amdhsa_exception_int_div_zero 0
	.end_amdhsa_kernel
	.section	.text._ZL19rocblas_her2_kernelIlLi512EPK19rocblas_complex_numIdEPKS3_PKPS1_EvbimT1_T2_lT_lSA_lSB_lT3_lSB_li,"axG",@progbits,_ZL19rocblas_her2_kernelIlLi512EPK19rocblas_complex_numIdEPKS3_PKPS1_EvbimT1_T2_lT_lSA_lSB_lT3_lSB_li,comdat
.Lfunc_end6:
	.size	_ZL19rocblas_her2_kernelIlLi512EPK19rocblas_complex_numIdEPKS3_PKPS1_EvbimT1_T2_lT_lSA_lSB_lT3_lSB_li, .Lfunc_end6-_ZL19rocblas_her2_kernelIlLi512EPK19rocblas_complex_numIdEPKS3_PKPS1_EvbimT1_T2_lT_lSA_lSB_lT3_lSB_li
                                        ; -- End function
	.set _ZL19rocblas_her2_kernelIlLi512EPK19rocblas_complex_numIdEPKS3_PKPS1_EvbimT1_T2_lT_lSA_lSB_lT3_lSB_li.num_vgpr, 42
	.set _ZL19rocblas_her2_kernelIlLi512EPK19rocblas_complex_numIdEPKS3_PKPS1_EvbimT1_T2_lT_lSA_lSB_lT3_lSB_li.num_agpr, 0
	.set _ZL19rocblas_her2_kernelIlLi512EPK19rocblas_complex_numIdEPKS3_PKPS1_EvbimT1_T2_lT_lSA_lSB_lT3_lSB_li.numbered_sgpr, 29
	.set _ZL19rocblas_her2_kernelIlLi512EPK19rocblas_complex_numIdEPKS3_PKPS1_EvbimT1_T2_lT_lSA_lSB_lT3_lSB_li.num_named_barrier, 0
	.set _ZL19rocblas_her2_kernelIlLi512EPK19rocblas_complex_numIdEPKS3_PKPS1_EvbimT1_T2_lT_lSA_lSB_lT3_lSB_li.private_seg_size, 0
	.set _ZL19rocblas_her2_kernelIlLi512EPK19rocblas_complex_numIdEPKS3_PKPS1_EvbimT1_T2_lT_lSA_lSB_lT3_lSB_li.uses_vcc, 1
	.set _ZL19rocblas_her2_kernelIlLi512EPK19rocblas_complex_numIdEPKS3_PKPS1_EvbimT1_T2_lT_lSA_lSB_lT3_lSB_li.uses_flat_scratch, 1
	.set _ZL19rocblas_her2_kernelIlLi512EPK19rocblas_complex_numIdEPKS3_PKPS1_EvbimT1_T2_lT_lSA_lSB_lT3_lSB_li.has_dyn_sized_stack, 0
	.set _ZL19rocblas_her2_kernelIlLi512EPK19rocblas_complex_numIdEPKS3_PKPS1_EvbimT1_T2_lT_lSA_lSB_lT3_lSB_li.has_recursion, 0
	.set _ZL19rocblas_her2_kernelIlLi512EPK19rocblas_complex_numIdEPKS3_PKPS1_EvbimT1_T2_lT_lSA_lSB_lT3_lSB_li.has_indirect_call, 0
	.section	.AMDGPU.csdata,"",@progbits
; Kernel info:
; codeLenInByte = 1276
; TotalNumSgprs: 31
; NumVgprs: 42
; ScratchSize: 0
; MemoryBound: 0
; FloatMode: 240
; IeeeMode: 1
; LDSByteSize: 0 bytes/workgroup (compile time only)
; SGPRBlocks: 0
; VGPRBlocks: 2
; NumSGPRsForWavesPerEU: 31
; NumVGPRsForWavesPerEU: 42
; NamedBarCnt: 0
; Occupancy: 16
; WaveLimiterHint : 1
; COMPUTE_PGM_RSRC2:SCRATCH_EN: 0
; COMPUTE_PGM_RSRC2:USER_SGPR: 2
; COMPUTE_PGM_RSRC2:TRAP_HANDLER: 0
; COMPUTE_PGM_RSRC2:TGID_X_EN: 1
; COMPUTE_PGM_RSRC2:TGID_Y_EN: 0
; COMPUTE_PGM_RSRC2:TGID_Z_EN: 1
; COMPUTE_PGM_RSRC2:TIDIG_COMP_CNT: 0
	.section	.text._ZL19rocblas_her2_kernelIlLi512E19rocblas_complex_numIdEPKPKS1_PKPS1_EvbimT1_T2_lT_lSA_lSB_lT3_lSB_li,"axG",@progbits,_ZL19rocblas_her2_kernelIlLi512E19rocblas_complex_numIdEPKPKS1_PKPS1_EvbimT1_T2_lT_lSA_lSB_lT3_lSB_li,comdat
	.globl	_ZL19rocblas_her2_kernelIlLi512E19rocblas_complex_numIdEPKPKS1_PKPS1_EvbimT1_T2_lT_lSA_lSB_lT3_lSB_li ; -- Begin function _ZL19rocblas_her2_kernelIlLi512E19rocblas_complex_numIdEPKPKS1_PKPS1_EvbimT1_T2_lT_lSA_lSB_lT3_lSB_li
	.p2align	8
	.type	_ZL19rocblas_her2_kernelIlLi512E19rocblas_complex_numIdEPKPKS1_PKPS1_EvbimT1_T2_lT_lSA_lSB_lT3_lSB_li,@function
_ZL19rocblas_her2_kernelIlLi512E19rocblas_complex_numIdEPKPKS1_PKPS1_EvbimT1_T2_lT_lSA_lSB_lT3_lSB_li: ; @_ZL19rocblas_her2_kernelIlLi512E19rocblas_complex_numIdEPKPKS1_PKPS1_EvbimT1_T2_lT_lSA_lSB_lT3_lSB_li
; %bb.0:
	s_load_b256 s[4:11], s[0:1], 0x8
	s_wait_kmcnt 0x0
	v_cmp_neq_f64_e64 s2, s[6:7], 0
	v_cmp_neq_f64_e64 s3, s[8:9], 0
	s_or_b32 s2, s2, s3
	s_delay_alu instid0(SALU_CYCLE_1)
	s_and_not1_b32 vcc_lo, exec_lo, s2
	s_cbranch_vccnz .LBB7_11
; %bb.1:
	s_load_b32 s24, s[0:1], 0x80
	s_bfe_u32 s2, ttmp6, 0x40014
	s_lshr_b32 s3, ttmp7, 16
	s_add_co_i32 s2, s2, 1
	s_bfe_u32 s13, ttmp6, 0x40008
	s_mul_i32 s2, s3, s2
	s_getreg_b32 s12, hwreg(HW_REG_IB_STS2, 6, 4)
	s_add_co_i32 s13, s13, s2
	s_cmp_eq_u32 s12, 0
	s_cselect_b32 s25, s3, s13
	s_wait_kmcnt 0x0
	s_cmp_ge_u32 s25, s24
	s_cbranch_scc1 .LBB7_11
; %bb.2:
	s_clause 0x4
	s_load_b64 s[2:3], s[0:1], 0x0
	s_load_b32 s13, s[0:1], 0x94
	s_load_b128 s[20:23], s[0:1], 0x28
	s_load_b64 s[26:27], s[0:1], 0x50
	s_load_b64 s[28:29], s[0:1], 0x70
	s_wait_kmcnt 0x0
	s_bitcmp1_b32 s2, 0
	s_cselect_b32 vcc_lo, -1, 0
	s_bfe_u32 s2, ttmp6, 0x4000c
	s_and_b32 s14, ttmp6, 15
	s_add_co_i32 s2, s2, 1
	v_mov_b32_e32 v1, 0
	s_mul_i32 s2, ttmp9, s2
	s_and_b32 s13, s13, 0xffff
	s_add_co_i32 s14, s14, s2
	s_cmp_eq_u32 s12, 0
	s_cselect_b32 s2, ttmp9, s14
	s_delay_alu instid0(SALU_CYCLE_1) | instskip(SKIP_3) | instid1(VALU_DEP_1)
	v_mad_nc_u64_u32 v[14:15], s13, s2, v[0:1]
	s_clause 0x1
	s_load_b128 s[12:15], s[0:1], 0x40
	s_load_b128 s[16:19], s[0:1], 0x60
	v_not_b32_e32 v1, v15
	s_delay_alu instid0(VALU_DEP_2) | instskip(NEXT) | instid1(VALU_DEP_1)
	v_not_b32_e32 v0, v14
	v_add_nc_u64_e32 v[0:1], s[4:5], v[0:1]
	s_wait_kmcnt 0x0
	s_lshl_b64 s[14:15], s[14:15], 4
	s_delay_alu instid0(VALU_DEP_1) | instskip(NEXT) | instid1(VALU_DEP_1)
	v_dual_cndmask_b32 v1, v1, v15 :: v_dual_cndmask_b32 v0, v0, v14
	v_lshlrev_b64_e32 v[2:3], 3, v[0:1]
	s_delay_alu instid0(VALU_DEP_1) | instskip(NEXT) | instid1(VALU_DEP_2)
	v_cvt_f64_u32_e32 v[4:5], v3
	v_or_b32_e32 v1, 1, v2
	s_delay_alu instid0(VALU_DEP_1) | instskip(NEXT) | instid1(VALU_DEP_3)
	v_cvt_f64_u32_e32 v[2:3], v1
	v_ldexp_f64 v[4:5], v[4:5], 32
	s_delay_alu instid0(VALU_DEP_1) | instskip(NEXT) | instid1(VALU_DEP_1)
	v_add_f64_e32 v[2:3], v[4:5], v[2:3]
	v_cmp_gt_f64_e64 s2, 0x10000000, v[2:3]
	s_delay_alu instid0(VALU_DEP_1) | instskip(NEXT) | instid1(VALU_DEP_1)
	v_cndmask_b32_e64 v1, 0, 0x100, s2
	v_ldexp_f64 v[2:3], v[2:3], v1
	v_cndmask_b32_e64 v1, 0, 0xffffff80, s2
	s_delay_alu instid0(VALU_DEP_2) | instskip(SKIP_1) | instid1(TRANS32_DEP_1)
	v_rsq_f64_e32 v[4:5], v[2:3]
	v_cmp_class_f64_e64 s2, v[2:3], 0x260
	v_mul_f64_e32 v[6:7], v[2:3], v[4:5]
	v_mul_f64_e32 v[4:5], 0.5, v[4:5]
	s_delay_alu instid0(VALU_DEP_1) | instskip(NEXT) | instid1(VALU_DEP_1)
	v_fma_f64 v[8:9], -v[4:5], v[6:7], 0.5
	v_fmac_f64_e32 v[6:7], v[6:7], v[8:9]
	v_fmac_f64_e32 v[4:5], v[4:5], v[8:9]
	s_delay_alu instid0(VALU_DEP_2) | instskip(NEXT) | instid1(VALU_DEP_1)
	v_fma_f64 v[8:9], -v[6:7], v[6:7], v[2:3]
	v_fmac_f64_e32 v[6:7], v[8:9], v[4:5]
	s_delay_alu instid0(VALU_DEP_1) | instskip(NEXT) | instid1(VALU_DEP_1)
	v_fma_f64 v[8:9], -v[6:7], v[6:7], v[2:3]
	v_fmac_f64_e32 v[6:7], v[8:9], v[4:5]
	s_delay_alu instid0(VALU_DEP_1) | instskip(NEXT) | instid1(VALU_DEP_1)
	v_ldexp_f64 v[4:5], v[6:7], v1
	v_dual_cndmask_b32 v3, v5, v3, s2 :: v_dual_cndmask_b32 v2, v4, v2, s2
	s_add_co_i32 s2, s3, -1
	s_delay_alu instid0(VALU_DEP_1) | instskip(NEXT) | instid1(VALU_DEP_1)
	v_add_f64_e32 v[2:3], -1.0, v[2:3]
	v_cvt_i32_f64_e32 v1, v[2:3]
	s_delay_alu instid0(VALU_DEP_1) | instskip(NEXT) | instid1(VALU_DEP_1)
	v_lshrrev_b32_e32 v2, 31, v1
	v_add_nc_u32_e32 v1, v1, v2
	s_delay_alu instid0(VALU_DEP_1) | instskip(NEXT) | instid1(VALU_DEP_1)
	v_ashrrev_i32_e32 v16, 1, v1
	v_dual_add_nc_u32 v2, 1, v16 :: v_dual_ashrrev_i32 v17, 31, v16
	s_delay_alu instid0(VALU_DEP_1) | instskip(NEXT) | instid1(VALU_DEP_1)
	v_ashrrev_i32_e32 v3, 31, v2
	v_mul_u64_e32 v[2:3], v[2:3], v[16:17]
	s_delay_alu instid0(VALU_DEP_1) | instskip(NEXT) | instid1(VALU_DEP_1)
	v_alignbit_b32 v1, v3, v2, 1
	v_dual_sub_nc_u32 v17, v0, v1 :: v_dual_sub_nc_u32 v0, s2, v16
	s_delay_alu instid0(VALU_DEP_1)
	v_dual_cndmask_b32 v18, v0, v16 :: v_dual_sub_nc_u32 v1, s2, v17
	v_cmp_le_i32_e64 s0, v16, v17
	s_lshl_b64 s[2:3], s[18:19], 4
	v_dual_cndmask_b32 v0, v1, v17 :: v_dual_ashrrev_i32 v19, 31, v18
	v_cmp_gt_u64_e32 vcc_lo, s[4:5], v[14:15]
	s_lshl_b64 s[4:5], s[20:21], 4
	s_delay_alu instid0(VALU_DEP_2) | instskip(NEXT) | instid1(VALU_DEP_3)
	v_ashrrev_i32_e32 v1, 31, v0
	v_mul_u64_e32 v[2:3], s[26:27], v[18:19]
	v_mul_u64_e32 v[4:5], s[22:23], v[18:19]
	;; [unrolled: 1-line block ×3, first 2 shown]
	v_cmp_eq_u32_e64 s1, v0, v18
	v_mul_u64_e32 v[6:7], s[28:29], v[0:1]
	v_mul_u64_e32 v[8:9], s[22:23], v[0:1]
	v_mul_u64_e32 v[10:11], s[26:27], v[0:1]
	s_branch .LBB7_4
.LBB7_3:                                ;   in Loop: Header=BB7_4 Depth=1
	s_wait_xcnt 0x0
	s_or_b32 exec_lo, exec_lo, s26
	s_add_co_i32 s25, s25, 0x10000
	s_delay_alu instid0(SALU_CYCLE_1)
	s_cmp_lt_u32 s25, s24
	s_cbranch_scc0 .LBB7_11
.LBB7_4:                                ; =>This Inner Loop Header: Depth=1
	s_and_saveexec_b32 s26, vcc_lo
	s_cbranch_execz .LBB7_3
; %bb.5:                                ;   in Loop: Header=BB7_4 Depth=1
	s_load_b64 s[18:19], s[16:17], s25 offset:0x0 scale_offset
	s_load_b64 s[20:21], s[10:11], s25 offset:0x0 scale_offset
	;; [unrolled: 1-line block ×3, first 2 shown]
	s_wait_kmcnt 0x0
	s_add_nc_u64 s[18:19], s[18:19], s[2:3]
	s_add_nc_u64 s[20:21], s[20:21], s[4:5]
	;; [unrolled: 1-line block ×3, first 2 shown]
	s_and_saveexec_b32 s27, s0
	s_delay_alu instid0(SALU_CYCLE_1)
	s_xor_b32 s27, exec_lo, s27
	s_cbranch_execz .LBB7_9
; %bb.6:                                ;   in Loop: Header=BB7_4 Depth=1
	s_and_saveexec_b32 s28, s1
	s_cbranch_execz .LBB7_8
; %bb.7:                                ;   in Loop: Header=BB7_4 Depth=1
	s_delay_alu instid0(VALU_DEP_2) | instskip(NEXT) | instid1(VALU_DEP_2)
	v_lshl_add_u64 v[14:15], v[8:9], 4, s[20:21]
	v_lshl_add_u64 v[18:19], v[10:11], 4, s[22:23]
	;; [unrolled: 1-line block ×3, first 2 shown]
	flat_load_b128 v[14:17], v[14:15]
	flat_load_b128 v[18:21], v[18:19]
	v_lshl_add_u64 v[22:23], v[0:1], 4, v[22:23]
	flat_load_b64 v[24:25], v[22:23]
	s_wait_loadcnt_dscnt 0x202
	v_mul_f64_e32 v[26:27], s[6:7], v[16:17]
	v_mul_f64_e32 v[28:29], s[8:9], v[16:17]
	s_wait_loadcnt_dscnt 0x101
	v_mul_f64_e32 v[30:31], s[8:9], v[18:19]
	v_mul_f64_e32 v[32:33], s[8:9], v[20:21]
	s_delay_alu instid0(VALU_DEP_4) | instskip(NEXT) | instid1(VALU_DEP_4)
	v_fmac_f64_e32 v[26:27], s[8:9], v[14:15]
	v_fma_f64 v[28:29], s[6:7], v[14:15], -v[28:29]
	s_delay_alu instid0(VALU_DEP_4) | instskip(NEXT) | instid1(VALU_DEP_4)
	v_fma_f64 v[30:31], s[6:7], v[20:21], -v[30:31]
	v_fmac_f64_e32 v[32:33], s[6:7], v[18:19]
	s_delay_alu instid0(VALU_DEP_4) | instskip(NEXT) | instid1(VALU_DEP_4)
	v_mul_f64_e32 v[34:35], v[20:21], v[26:27]
	v_mul_f64_e32 v[20:21], v[20:21], v[28:29]
	s_delay_alu instid0(VALU_DEP_4) | instskip(NEXT) | instid1(VALU_DEP_4)
	v_mul_f64_e32 v[36:37], v[16:17], v[30:31]
	v_mul_f64_e32 v[16:17], v[16:17], v[32:33]
	s_delay_alu instid0(VALU_DEP_4) | instskip(SKIP_1) | instid1(VALU_DEP_4)
	v_fmac_f64_e32 v[34:35], v[18:19], v[28:29]
	s_wait_xcnt 0x1
	v_fma_f64 v[18:19], v[18:19], v[26:27], -v[20:21]
	s_delay_alu instid0(VALU_DEP_4) | instskip(NEXT) | instid1(VALU_DEP_4)
	v_fmac_f64_e32 v[36:37], v[14:15], v[32:33]
	v_fma_f64 v[16:17], v[14:15], v[30:31], -v[16:17]
	s_wait_loadcnt_dscnt 0x0
	s_delay_alu instid0(VALU_DEP_4) | instskip(NEXT) | instid1(VALU_DEP_2)
	v_add_f64_e32 v[20:21], v[24:25], v[34:35]
	v_add_f64_e32 v[16:17], v[18:19], v[16:17]
	s_delay_alu instid0(VALU_DEP_2)
	v_add_f64_e32 v[14:15], v[20:21], v[36:37]
	flat_store_b128 v[22:23], v[14:17]
.LBB7_8:                                ;   in Loop: Header=BB7_4 Depth=1
	s_wait_xcnt 0x0
	s_or_b32 exec_lo, exec_lo, s28
.LBB7_9:                                ;   in Loop: Header=BB7_4 Depth=1
	s_and_not1_saveexec_b32 s27, s27
	s_cbranch_execz .LBB7_3
; %bb.10:                               ;   in Loop: Header=BB7_4 Depth=1
	s_delay_alu instid0(VALU_DEP_2) | instskip(NEXT) | instid1(VALU_DEP_2)
	v_lshl_add_u64 v[22:23], v[8:9], 4, s[20:21]
	v_lshl_add_u64 v[24:25], v[10:11], 4, s[22:23]
	;; [unrolled: 1-line block ×4, first 2 shown]
	flat_load_b128 v[14:17], v[22:23]
	s_clause 0x1
	flat_load_b128 v[18:21], v[24:25]
	flat_load_b128 v[22:25], v[30:31]
	;; [unrolled: 1-line block ×3, first 2 shown]
	s_wait_xcnt 0x1
	v_lshl_add_u64 v[30:31], v[12:13], 4, s[18:19]
	s_delay_alu instid0(VALU_DEP_1)
	v_lshl_add_u64 v[34:35], v[0:1], 4, v[30:31]
	flat_load_b128 v[30:33], v[34:35]
	s_wait_loadcnt_dscnt 0x404
	v_mul_f64_e32 v[36:37], s[6:7], v[16:17]
	v_mul_f64_e32 v[16:17], s[8:9], v[16:17]
	s_wait_loadcnt_dscnt 0x303
	v_mul_f64_e32 v[38:39], s[8:9], v[18:19]
	v_mul_f64_e32 v[40:41], s[8:9], v[20:21]
	s_delay_alu instid0(VALU_DEP_4) | instskip(NEXT) | instid1(VALU_DEP_4)
	v_fmac_f64_e32 v[36:37], s[8:9], v[14:15]
	v_fma_f64 v[14:15], s[6:7], v[14:15], -v[16:17]
	s_delay_alu instid0(VALU_DEP_4) | instskip(NEXT) | instid1(VALU_DEP_4)
	v_fma_f64 v[16:17], s[6:7], v[20:21], -v[38:39]
	v_fmac_f64_e32 v[40:41], s[6:7], v[18:19]
	s_wait_loadcnt_dscnt 0x202
	s_delay_alu instid0(VALU_DEP_4) | instskip(NEXT) | instid1(VALU_DEP_4)
	v_mul_f64_e32 v[18:19], v[24:25], v[36:37]
	v_mul_f64_e32 v[20:21], v[24:25], v[14:15]
	s_wait_loadcnt_dscnt 0x101
	s_delay_alu instid0(VALU_DEP_4) | instskip(NEXT) | instid1(VALU_DEP_4)
	v_mul_f64_e32 v[24:25], v[28:29], v[16:17]
	v_mul_f64_e32 v[28:29], v[28:29], v[40:41]
	s_delay_alu instid0(VALU_DEP_4) | instskip(NEXT) | instid1(VALU_DEP_4)
	v_fmac_f64_e32 v[18:19], v[22:23], v[14:15]
	v_fma_f64 v[14:15], v[22:23], v[36:37], -v[20:21]
	s_delay_alu instid0(VALU_DEP_4) | instskip(NEXT) | instid1(VALU_DEP_4)
	v_fmac_f64_e32 v[24:25], v[26:27], v[40:41]
	v_fma_f64 v[16:17], v[26:27], v[16:17], -v[28:29]
	s_delay_alu instid0(VALU_DEP_2) | instskip(NEXT) | instid1(VALU_DEP_2)
	v_add_f64_e32 v[18:19], v[18:19], v[24:25]
	v_add_f64_e32 v[16:17], v[14:15], v[16:17]
	s_wait_loadcnt_dscnt 0x0
	s_delay_alu instid0(VALU_DEP_2) | instskip(NEXT) | instid1(VALU_DEP_2)
	v_add_f64_e32 v[14:15], v[30:31], v[18:19]
	v_add_f64_e32 v[16:17], v[32:33], v[16:17]
	flat_store_b128 v[34:35], v[14:17]
	s_branch .LBB7_3
.LBB7_11:
	s_endpgm
	.section	.rodata,"a",@progbits
	.p2align	6, 0x0
	.amdhsa_kernel _ZL19rocblas_her2_kernelIlLi512E19rocblas_complex_numIdEPKPKS1_PKPS1_EvbimT1_T2_lT_lSA_lSB_lT3_lSB_li
		.amdhsa_group_segment_fixed_size 0
		.amdhsa_private_segment_fixed_size 0
		.amdhsa_kernarg_size 392
		.amdhsa_user_sgpr_count 2
		.amdhsa_user_sgpr_dispatch_ptr 0
		.amdhsa_user_sgpr_queue_ptr 0
		.amdhsa_user_sgpr_kernarg_segment_ptr 1
		.amdhsa_user_sgpr_dispatch_id 0
		.amdhsa_user_sgpr_kernarg_preload_length 0
		.amdhsa_user_sgpr_kernarg_preload_offset 0
		.amdhsa_user_sgpr_private_segment_size 0
		.amdhsa_wavefront_size32 1
		.amdhsa_uses_dynamic_stack 0
		.amdhsa_enable_private_segment 0
		.amdhsa_system_sgpr_workgroup_id_x 1
		.amdhsa_system_sgpr_workgroup_id_y 0
		.amdhsa_system_sgpr_workgroup_id_z 1
		.amdhsa_system_sgpr_workgroup_info 0
		.amdhsa_system_vgpr_workitem_id 0
		.amdhsa_next_free_vgpr 42
		.amdhsa_next_free_sgpr 30
		.amdhsa_named_barrier_count 0
		.amdhsa_reserve_vcc 1
		.amdhsa_float_round_mode_32 0
		.amdhsa_float_round_mode_16_64 0
		.amdhsa_float_denorm_mode_32 3
		.amdhsa_float_denorm_mode_16_64 3
		.amdhsa_fp16_overflow 0
		.amdhsa_memory_ordered 1
		.amdhsa_forward_progress 1
		.amdhsa_inst_pref_size 10
		.amdhsa_round_robin_scheduling 0
		.amdhsa_exception_fp_ieee_invalid_op 0
		.amdhsa_exception_fp_denorm_src 0
		.amdhsa_exception_fp_ieee_div_zero 0
		.amdhsa_exception_fp_ieee_overflow 0
		.amdhsa_exception_fp_ieee_underflow 0
		.amdhsa_exception_fp_ieee_inexact 0
		.amdhsa_exception_int_div_zero 0
	.end_amdhsa_kernel
	.section	.text._ZL19rocblas_her2_kernelIlLi512E19rocblas_complex_numIdEPKPKS1_PKPS1_EvbimT1_T2_lT_lSA_lSB_lT3_lSB_li,"axG",@progbits,_ZL19rocblas_her2_kernelIlLi512E19rocblas_complex_numIdEPKPKS1_PKPS1_EvbimT1_T2_lT_lSA_lSB_lT3_lSB_li,comdat
.Lfunc_end7:
	.size	_ZL19rocblas_her2_kernelIlLi512E19rocblas_complex_numIdEPKPKS1_PKPS1_EvbimT1_T2_lT_lSA_lSB_lT3_lSB_li, .Lfunc_end7-_ZL19rocblas_her2_kernelIlLi512E19rocblas_complex_numIdEPKPKS1_PKPS1_EvbimT1_T2_lT_lSA_lSB_lT3_lSB_li
                                        ; -- End function
	.set _ZL19rocblas_her2_kernelIlLi512E19rocblas_complex_numIdEPKPKS1_PKPS1_EvbimT1_T2_lT_lSA_lSB_lT3_lSB_li.num_vgpr, 42
	.set _ZL19rocblas_her2_kernelIlLi512E19rocblas_complex_numIdEPKPKS1_PKPS1_EvbimT1_T2_lT_lSA_lSB_lT3_lSB_li.num_agpr, 0
	.set _ZL19rocblas_her2_kernelIlLi512E19rocblas_complex_numIdEPKPKS1_PKPS1_EvbimT1_T2_lT_lSA_lSB_lT3_lSB_li.numbered_sgpr, 30
	.set _ZL19rocblas_her2_kernelIlLi512E19rocblas_complex_numIdEPKPKS1_PKPS1_EvbimT1_T2_lT_lSA_lSB_lT3_lSB_li.num_named_barrier, 0
	.set _ZL19rocblas_her2_kernelIlLi512E19rocblas_complex_numIdEPKPKS1_PKPS1_EvbimT1_T2_lT_lSA_lSB_lT3_lSB_li.private_seg_size, 0
	.set _ZL19rocblas_her2_kernelIlLi512E19rocblas_complex_numIdEPKPKS1_PKPS1_EvbimT1_T2_lT_lSA_lSB_lT3_lSB_li.uses_vcc, 1
	.set _ZL19rocblas_her2_kernelIlLi512E19rocblas_complex_numIdEPKPKS1_PKPS1_EvbimT1_T2_lT_lSA_lSB_lT3_lSB_li.uses_flat_scratch, 1
	.set _ZL19rocblas_her2_kernelIlLi512E19rocblas_complex_numIdEPKPKS1_PKPS1_EvbimT1_T2_lT_lSA_lSB_lT3_lSB_li.has_dyn_sized_stack, 0
	.set _ZL19rocblas_her2_kernelIlLi512E19rocblas_complex_numIdEPKPKS1_PKPS1_EvbimT1_T2_lT_lSA_lSB_lT3_lSB_li.has_recursion, 0
	.set _ZL19rocblas_her2_kernelIlLi512E19rocblas_complex_numIdEPKPKS1_PKPS1_EvbimT1_T2_lT_lSA_lSB_lT3_lSB_li.has_indirect_call, 0
	.section	.AMDGPU.csdata,"",@progbits
; Kernel info:
; codeLenInByte = 1268
; TotalNumSgprs: 32
; NumVgprs: 42
; ScratchSize: 0
; MemoryBound: 0
; FloatMode: 240
; IeeeMode: 1
; LDSByteSize: 0 bytes/workgroup (compile time only)
; SGPRBlocks: 0
; VGPRBlocks: 2
; NumSGPRsForWavesPerEU: 32
; NumVGPRsForWavesPerEU: 42
; NamedBarCnt: 0
; Occupancy: 16
; WaveLimiterHint : 1
; COMPUTE_PGM_RSRC2:SCRATCH_EN: 0
; COMPUTE_PGM_RSRC2:USER_SGPR: 2
; COMPUTE_PGM_RSRC2:TRAP_HANDLER: 0
; COMPUTE_PGM_RSRC2:TGID_X_EN: 1
; COMPUTE_PGM_RSRC2:TGID_Y_EN: 0
; COMPUTE_PGM_RSRC2:TGID_Z_EN: 1
; COMPUTE_PGM_RSRC2:TIDIG_COMP_CNT: 0
	.section	.AMDGPU.gpr_maximums,"",@progbits
	.set amdgpu.max_num_vgpr, 0
	.set amdgpu.max_num_agpr, 0
	.set amdgpu.max_num_sgpr, 0
	.section	.AMDGPU.csdata,"",@progbits
	.type	__hip_cuid_897adc04ce6fb12d,@object ; @__hip_cuid_897adc04ce6fb12d
	.section	.bss,"aw",@nobits
	.globl	__hip_cuid_897adc04ce6fb12d
__hip_cuid_897adc04ce6fb12d:
	.byte	0                               ; 0x0
	.size	__hip_cuid_897adc04ce6fb12d, 1

	.ident	"AMD clang version 22.0.0git (https://github.com/RadeonOpenCompute/llvm-project roc-7.2.4 26084 f58b06dce1f9c15707c5f808fd002e18c2accf7e)"
	.section	".note.GNU-stack","",@progbits
	.addrsig
	.addrsig_sym __hip_cuid_897adc04ce6fb12d
	.amdgpu_metadata
---
amdhsa.kernels:
  - .args:
      - .offset:         0
        .size:           1
        .value_kind:     by_value
      - .offset:         4
        .size:           4
        .value_kind:     by_value
      - .offset:         8
        .size:           8
        .value_kind:     by_value
      - .address_space:  global
        .offset:         16
        .size:           8
        .value_kind:     global_buffer
      - .address_space:  global
        .offset:         24
        .size:           8
        .value_kind:     global_buffer
      - .offset:         32
        .size:           8
        .value_kind:     by_value
      - .offset:         40
        .size:           8
        .value_kind:     by_value
      - .offset:         48
        .size:           8
        .value_kind:     by_value
      - .address_space:  global
        .offset:         56
        .size:           8
        .value_kind:     global_buffer
      - .offset:         64
        .size:           8
        .value_kind:     by_value
      - .offset:         72
        .size:           8
        .value_kind:     by_value
      - .offset:         80
        .size:           8
        .value_kind:     by_value
      - .address_space:  global
        .offset:         88
        .size:           8
        .value_kind:     global_buffer
      - .offset:         96
        .size:           8
        .value_kind:     by_value
      - .offset:         104
        .size:           8
        .value_kind:     by_value
      - .offset:         112
        .size:           8
        .value_kind:     by_value
      - .offset:         120
        .size:           4
        .value_kind:     by_value
      - .offset:         128
        .size:           4
        .value_kind:     hidden_block_count_x
      - .offset:         132
        .size:           4
        .value_kind:     hidden_block_count_y
      - .offset:         136
        .size:           4
        .value_kind:     hidden_block_count_z
      - .offset:         140
        .size:           2
        .value_kind:     hidden_group_size_x
      - .offset:         142
        .size:           2
        .value_kind:     hidden_group_size_y
      - .offset:         144
        .size:           2
        .value_kind:     hidden_group_size_z
      - .offset:         146
        .size:           2
        .value_kind:     hidden_remainder_x
      - .offset:         148
        .size:           2
        .value_kind:     hidden_remainder_y
      - .offset:         150
        .size:           2
        .value_kind:     hidden_remainder_z
      - .offset:         168
        .size:           8
        .value_kind:     hidden_global_offset_x
      - .offset:         176
        .size:           8
        .value_kind:     hidden_global_offset_y
      - .offset:         184
        .size:           8
        .value_kind:     hidden_global_offset_z
      - .offset:         192
        .size:           2
        .value_kind:     hidden_grid_dims
    .group_segment_fixed_size: 0
    .kernarg_segment_align: 8
    .kernarg_segment_size: 384
    .language:       OpenCL C
    .language_version:
      - 2
      - 0
    .max_flat_workgroup_size: 512
    .name:           _ZL19rocblas_her2_kernelIlLi512EPK19rocblas_complex_numIfES3_PS1_EvbimT1_T2_lT_lS6_lS7_lT3_lS7_li
    .private_segment_fixed_size: 0
    .sgpr_count:     40
    .sgpr_spill_count: 0
    .symbol:         _ZL19rocblas_her2_kernelIlLi512EPK19rocblas_complex_numIfES3_PS1_EvbimT1_T2_lT_lS6_lS7_lT3_lS7_li.kd
    .uniform_work_group_size: 1
    .uses_dynamic_stack: false
    .vgpr_count:     34
    .vgpr_spill_count: 0
    .wavefront_size: 32
  - .args:
      - .offset:         0
        .size:           1
        .value_kind:     by_value
      - .offset:         4
        .size:           4
        .value_kind:     by_value
      - .offset:         8
        .size:           8
        .value_kind:     by_value
      - .offset:         16
        .size:           8
        .value_kind:     by_value
      - .address_space:  global
        .offset:         24
        .size:           8
        .value_kind:     global_buffer
      - .offset:         32
        .size:           8
        .value_kind:     by_value
      - .offset:         40
        .size:           8
        .value_kind:     by_value
      - .offset:         48
        .size:           8
        .value_kind:     by_value
      - .address_space:  global
        .offset:         56
        .size:           8
        .value_kind:     global_buffer
      - .offset:         64
        .size:           8
        .value_kind:     by_value
      - .offset:         72
        .size:           8
        .value_kind:     by_value
      - .offset:         80
        .size:           8
        .value_kind:     by_value
      - .address_space:  global
        .offset:         88
        .size:           8
        .value_kind:     global_buffer
      - .offset:         96
        .size:           8
        .value_kind:     by_value
      - .offset:         104
        .size:           8
        .value_kind:     by_value
      - .offset:         112
        .size:           8
        .value_kind:     by_value
      - .offset:         120
        .size:           4
        .value_kind:     by_value
      - .offset:         128
        .size:           4
        .value_kind:     hidden_block_count_x
      - .offset:         132
        .size:           4
        .value_kind:     hidden_block_count_y
      - .offset:         136
        .size:           4
        .value_kind:     hidden_block_count_z
      - .offset:         140
        .size:           2
        .value_kind:     hidden_group_size_x
      - .offset:         142
        .size:           2
        .value_kind:     hidden_group_size_y
      - .offset:         144
        .size:           2
        .value_kind:     hidden_group_size_z
      - .offset:         146
        .size:           2
        .value_kind:     hidden_remainder_x
      - .offset:         148
        .size:           2
        .value_kind:     hidden_remainder_y
      - .offset:         150
        .size:           2
        .value_kind:     hidden_remainder_z
      - .offset:         168
        .size:           8
        .value_kind:     hidden_global_offset_x
      - .offset:         176
        .size:           8
        .value_kind:     hidden_global_offset_y
      - .offset:         184
        .size:           8
        .value_kind:     hidden_global_offset_z
      - .offset:         192
        .size:           2
        .value_kind:     hidden_grid_dims
    .group_segment_fixed_size: 0
    .kernarg_segment_align: 8
    .kernarg_segment_size: 384
    .language:       OpenCL C
    .language_version:
      - 2
      - 0
    .max_flat_workgroup_size: 512
    .name:           _ZL19rocblas_her2_kernelIlLi512E19rocblas_complex_numIfEPKS1_PS1_EvbimT1_T2_lT_lS6_lS7_lT3_lS7_li
    .private_segment_fixed_size: 0
    .sgpr_count:     41
    .sgpr_spill_count: 0
    .symbol:         _ZL19rocblas_her2_kernelIlLi512E19rocblas_complex_numIfEPKS1_PS1_EvbimT1_T2_lT_lS6_lS7_lT3_lS7_li.kd
    .uniform_work_group_size: 1
    .uses_dynamic_stack: false
    .vgpr_count:     34
    .vgpr_spill_count: 0
    .wavefront_size: 32
  - .args:
      - .offset:         0
        .size:           1
        .value_kind:     by_value
      - .offset:         4
        .size:           4
        .value_kind:     by_value
      - .offset:         8
        .size:           8
        .value_kind:     by_value
      - .address_space:  global
        .offset:         16
        .size:           8
        .value_kind:     global_buffer
      - .address_space:  global
        .offset:         24
        .size:           8
        .value_kind:     global_buffer
      - .offset:         32
        .size:           8
        .value_kind:     by_value
      - .offset:         40
        .size:           8
        .value_kind:     by_value
      - .offset:         48
        .size:           8
        .value_kind:     by_value
      - .address_space:  global
        .offset:         56
        .size:           8
        .value_kind:     global_buffer
      - .offset:         64
        .size:           8
        .value_kind:     by_value
      - .offset:         72
        .size:           8
        .value_kind:     by_value
      - .offset:         80
        .size:           8
        .value_kind:     by_value
      - .address_space:  global
        .offset:         88
        .size:           8
        .value_kind:     global_buffer
      - .offset:         96
        .size:           8
        .value_kind:     by_value
      - .offset:         104
        .size:           8
        .value_kind:     by_value
      - .offset:         112
        .size:           8
        .value_kind:     by_value
      - .offset:         120
        .size:           4
        .value_kind:     by_value
      - .offset:         128
        .size:           4
        .value_kind:     hidden_block_count_x
      - .offset:         132
        .size:           4
        .value_kind:     hidden_block_count_y
      - .offset:         136
        .size:           4
        .value_kind:     hidden_block_count_z
      - .offset:         140
        .size:           2
        .value_kind:     hidden_group_size_x
      - .offset:         142
        .size:           2
        .value_kind:     hidden_group_size_y
      - .offset:         144
        .size:           2
        .value_kind:     hidden_group_size_z
      - .offset:         146
        .size:           2
        .value_kind:     hidden_remainder_x
      - .offset:         148
        .size:           2
        .value_kind:     hidden_remainder_y
      - .offset:         150
        .size:           2
        .value_kind:     hidden_remainder_z
      - .offset:         168
        .size:           8
        .value_kind:     hidden_global_offset_x
      - .offset:         176
        .size:           8
        .value_kind:     hidden_global_offset_y
      - .offset:         184
        .size:           8
        .value_kind:     hidden_global_offset_z
      - .offset:         192
        .size:           2
        .value_kind:     hidden_grid_dims
    .group_segment_fixed_size: 0
    .kernarg_segment_align: 8
    .kernarg_segment_size: 384
    .language:       OpenCL C
    .language_version:
      - 2
      - 0
    .max_flat_workgroup_size: 512
    .name:           _ZL19rocblas_her2_kernelIlLi512EPK19rocblas_complex_numIdES3_PS1_EvbimT1_T2_lT_lS6_lS7_lT3_lS7_li
    .private_segment_fixed_size: 0
    .sgpr_count:     42
    .sgpr_spill_count: 0
    .symbol:         _ZL19rocblas_her2_kernelIlLi512EPK19rocblas_complex_numIdES3_PS1_EvbimT1_T2_lT_lS6_lS7_lT3_lS7_li.kd
    .uniform_work_group_size: 1
    .uses_dynamic_stack: false
    .vgpr_count:     42
    .vgpr_spill_count: 0
    .wavefront_size: 32
  - .args:
      - .offset:         0
        .size:           1
        .value_kind:     by_value
      - .offset:         4
        .size:           4
        .value_kind:     by_value
      - .offset:         8
        .size:           8
        .value_kind:     by_value
      - .offset:         16
        .size:           16
        .value_kind:     by_value
      - .address_space:  global
        .offset:         32
        .size:           8
        .value_kind:     global_buffer
      - .offset:         40
        .size:           8
        .value_kind:     by_value
      - .offset:         48
        .size:           8
        .value_kind:     by_value
      - .offset:         56
        .size:           8
        .value_kind:     by_value
      - .address_space:  global
        .offset:         64
        .size:           8
        .value_kind:     global_buffer
      - .offset:         72
        .size:           8
        .value_kind:     by_value
      - .offset:         80
        .size:           8
        .value_kind:     by_value
      - .offset:         88
        .size:           8
        .value_kind:     by_value
      - .address_space:  global
        .offset:         96
        .size:           8
        .value_kind:     global_buffer
      - .offset:         104
        .size:           8
        .value_kind:     by_value
      - .offset:         112
        .size:           8
        .value_kind:     by_value
      - .offset:         120
        .size:           8
        .value_kind:     by_value
      - .offset:         128
        .size:           4
        .value_kind:     by_value
      - .offset:         136
        .size:           4
        .value_kind:     hidden_block_count_x
      - .offset:         140
        .size:           4
        .value_kind:     hidden_block_count_y
      - .offset:         144
        .size:           4
        .value_kind:     hidden_block_count_z
      - .offset:         148
        .size:           2
        .value_kind:     hidden_group_size_x
      - .offset:         150
        .size:           2
        .value_kind:     hidden_group_size_y
      - .offset:         152
        .size:           2
        .value_kind:     hidden_group_size_z
      - .offset:         154
        .size:           2
        .value_kind:     hidden_remainder_x
      - .offset:         156
        .size:           2
        .value_kind:     hidden_remainder_y
      - .offset:         158
        .size:           2
        .value_kind:     hidden_remainder_z
      - .offset:         176
        .size:           8
        .value_kind:     hidden_global_offset_x
      - .offset:         184
        .size:           8
        .value_kind:     hidden_global_offset_y
      - .offset:         192
        .size:           8
        .value_kind:     hidden_global_offset_z
      - .offset:         200
        .size:           2
        .value_kind:     hidden_grid_dims
    .group_segment_fixed_size: 0
    .kernarg_segment_align: 8
    .kernarg_segment_size: 392
    .language:       OpenCL C
    .language_version:
      - 2
      - 0
    .max_flat_workgroup_size: 512
    .name:           _ZL19rocblas_her2_kernelIlLi512E19rocblas_complex_numIdEPKS1_PS1_EvbimT1_T2_lT_lS6_lS7_lT3_lS7_li
    .private_segment_fixed_size: 0
    .sgpr_count:     41
    .sgpr_spill_count: 0
    .symbol:         _ZL19rocblas_her2_kernelIlLi512E19rocblas_complex_numIdEPKS1_PS1_EvbimT1_T2_lT_lS6_lS7_lT3_lS7_li.kd
    .uniform_work_group_size: 1
    .uses_dynamic_stack: false
    .vgpr_count:     42
    .vgpr_spill_count: 0
    .wavefront_size: 32
  - .args:
      - .offset:         0
        .size:           1
        .value_kind:     by_value
      - .offset:         4
        .size:           4
        .value_kind:     by_value
      - .offset:         8
        .size:           8
        .value_kind:     by_value
      - .address_space:  global
        .offset:         16
        .size:           8
        .value_kind:     global_buffer
      - .address_space:  global
        .offset:         24
        .size:           8
        .value_kind:     global_buffer
      - .offset:         32
        .size:           8
        .value_kind:     by_value
      - .offset:         40
        .size:           8
        .value_kind:     by_value
      - .offset:         48
        .size:           8
        .value_kind:     by_value
      - .address_space:  global
        .offset:         56
        .size:           8
        .value_kind:     global_buffer
      - .offset:         64
        .size:           8
        .value_kind:     by_value
      - .offset:         72
        .size:           8
        .value_kind:     by_value
      - .offset:         80
        .size:           8
        .value_kind:     by_value
      - .address_space:  global
        .offset:         88
        .size:           8
        .value_kind:     global_buffer
      - .offset:         96
        .size:           8
        .value_kind:     by_value
      - .offset:         104
        .size:           8
        .value_kind:     by_value
      - .offset:         112
        .size:           8
        .value_kind:     by_value
      - .offset:         120
        .size:           4
        .value_kind:     by_value
      - .offset:         128
        .size:           4
        .value_kind:     hidden_block_count_x
      - .offset:         132
        .size:           4
        .value_kind:     hidden_block_count_y
      - .offset:         136
        .size:           4
        .value_kind:     hidden_block_count_z
      - .offset:         140
        .size:           2
        .value_kind:     hidden_group_size_x
      - .offset:         142
        .size:           2
        .value_kind:     hidden_group_size_y
      - .offset:         144
        .size:           2
        .value_kind:     hidden_group_size_z
      - .offset:         146
        .size:           2
        .value_kind:     hidden_remainder_x
      - .offset:         148
        .size:           2
        .value_kind:     hidden_remainder_y
      - .offset:         150
        .size:           2
        .value_kind:     hidden_remainder_z
      - .offset:         168
        .size:           8
        .value_kind:     hidden_global_offset_x
      - .offset:         176
        .size:           8
        .value_kind:     hidden_global_offset_y
      - .offset:         184
        .size:           8
        .value_kind:     hidden_global_offset_z
      - .offset:         192
        .size:           2
        .value_kind:     hidden_grid_dims
    .group_segment_fixed_size: 0
    .kernarg_segment_align: 8
    .kernarg_segment_size: 384
    .language:       OpenCL C
    .language_version:
      - 2
      - 0
    .max_flat_workgroup_size: 512
    .name:           _ZL19rocblas_her2_kernelIlLi512EPK19rocblas_complex_numIfEPKS3_PKPS1_EvbimT1_T2_lT_lSA_lSB_lT3_lSB_li
    .private_segment_fixed_size: 0
    .sgpr_count:     26
    .sgpr_spill_count: 0
    .symbol:         _ZL19rocblas_her2_kernelIlLi512EPK19rocblas_complex_numIfEPKS3_PKPS1_EvbimT1_T2_lT_lSA_lSB_lT3_lSB_li.kd
    .uniform_work_group_size: 1
    .uses_dynamic_stack: false
    .vgpr_count:     34
    .vgpr_spill_count: 0
    .wavefront_size: 32
  - .args:
      - .offset:         0
        .size:           1
        .value_kind:     by_value
      - .offset:         4
        .size:           4
        .value_kind:     by_value
      - .offset:         8
        .size:           8
        .value_kind:     by_value
      - .offset:         16
        .size:           8
        .value_kind:     by_value
      - .address_space:  global
        .offset:         24
        .size:           8
        .value_kind:     global_buffer
      - .offset:         32
        .size:           8
        .value_kind:     by_value
      - .offset:         40
        .size:           8
        .value_kind:     by_value
      - .offset:         48
        .size:           8
        .value_kind:     by_value
      - .address_space:  global
        .offset:         56
        .size:           8
        .value_kind:     global_buffer
      - .offset:         64
        .size:           8
        .value_kind:     by_value
      - .offset:         72
        .size:           8
        .value_kind:     by_value
      - .offset:         80
        .size:           8
        .value_kind:     by_value
      - .address_space:  global
        .offset:         88
        .size:           8
        .value_kind:     global_buffer
      - .offset:         96
        .size:           8
        .value_kind:     by_value
      - .offset:         104
        .size:           8
        .value_kind:     by_value
      - .offset:         112
        .size:           8
        .value_kind:     by_value
      - .offset:         120
        .size:           4
        .value_kind:     by_value
      - .offset:         128
        .size:           4
        .value_kind:     hidden_block_count_x
      - .offset:         132
        .size:           4
        .value_kind:     hidden_block_count_y
      - .offset:         136
        .size:           4
        .value_kind:     hidden_block_count_z
      - .offset:         140
        .size:           2
        .value_kind:     hidden_group_size_x
      - .offset:         142
        .size:           2
        .value_kind:     hidden_group_size_y
      - .offset:         144
        .size:           2
        .value_kind:     hidden_group_size_z
      - .offset:         146
        .size:           2
        .value_kind:     hidden_remainder_x
      - .offset:         148
        .size:           2
        .value_kind:     hidden_remainder_y
      - .offset:         150
        .size:           2
        .value_kind:     hidden_remainder_z
      - .offset:         168
        .size:           8
        .value_kind:     hidden_global_offset_x
      - .offset:         176
        .size:           8
        .value_kind:     hidden_global_offset_y
      - .offset:         184
        .size:           8
        .value_kind:     hidden_global_offset_z
      - .offset:         192
        .size:           2
        .value_kind:     hidden_grid_dims
    .group_segment_fixed_size: 0
    .kernarg_segment_align: 8
    .kernarg_segment_size: 384
    .language:       OpenCL C
    .language_version:
      - 2
      - 0
    .max_flat_workgroup_size: 512
    .name:           _ZL19rocblas_her2_kernelIlLi512E19rocblas_complex_numIfEPKPKS1_PKPS1_EvbimT1_T2_lT_lSA_lSB_lT3_lSB_li
    .private_segment_fixed_size: 0
    .sgpr_count:     30
    .sgpr_spill_count: 0
    .symbol:         _ZL19rocblas_her2_kernelIlLi512E19rocblas_complex_numIfEPKPKS1_PKPS1_EvbimT1_T2_lT_lSA_lSB_lT3_lSB_li.kd
    .uniform_work_group_size: 1
    .uses_dynamic_stack: false
    .vgpr_count:     34
    .vgpr_spill_count: 0
    .wavefront_size: 32
  - .args:
      - .offset:         0
        .size:           1
        .value_kind:     by_value
      - .offset:         4
        .size:           4
        .value_kind:     by_value
      - .offset:         8
        .size:           8
        .value_kind:     by_value
      - .address_space:  global
        .offset:         16
        .size:           8
        .value_kind:     global_buffer
      - .address_space:  global
        .offset:         24
        .size:           8
        .value_kind:     global_buffer
      - .offset:         32
        .size:           8
        .value_kind:     by_value
      - .offset:         40
        .size:           8
        .value_kind:     by_value
      - .offset:         48
        .size:           8
        .value_kind:     by_value
      - .address_space:  global
        .offset:         56
        .size:           8
        .value_kind:     global_buffer
      - .offset:         64
        .size:           8
        .value_kind:     by_value
      - .offset:         72
        .size:           8
        .value_kind:     by_value
      - .offset:         80
        .size:           8
        .value_kind:     by_value
      - .address_space:  global
        .offset:         88
        .size:           8
        .value_kind:     global_buffer
      - .offset:         96
        .size:           8
        .value_kind:     by_value
      - .offset:         104
        .size:           8
        .value_kind:     by_value
      - .offset:         112
        .size:           8
        .value_kind:     by_value
      - .offset:         120
        .size:           4
        .value_kind:     by_value
      - .offset:         128
        .size:           4
        .value_kind:     hidden_block_count_x
      - .offset:         132
        .size:           4
        .value_kind:     hidden_block_count_y
      - .offset:         136
        .size:           4
        .value_kind:     hidden_block_count_z
      - .offset:         140
        .size:           2
        .value_kind:     hidden_group_size_x
      - .offset:         142
        .size:           2
        .value_kind:     hidden_group_size_y
      - .offset:         144
        .size:           2
        .value_kind:     hidden_group_size_z
      - .offset:         146
        .size:           2
        .value_kind:     hidden_remainder_x
      - .offset:         148
        .size:           2
        .value_kind:     hidden_remainder_y
      - .offset:         150
        .size:           2
        .value_kind:     hidden_remainder_z
      - .offset:         168
        .size:           8
        .value_kind:     hidden_global_offset_x
      - .offset:         176
        .size:           8
        .value_kind:     hidden_global_offset_y
      - .offset:         184
        .size:           8
        .value_kind:     hidden_global_offset_z
      - .offset:         192
        .size:           2
        .value_kind:     hidden_grid_dims
    .group_segment_fixed_size: 0
    .kernarg_segment_align: 8
    .kernarg_segment_size: 384
    .language:       OpenCL C
    .language_version:
      - 2
      - 0
    .max_flat_workgroup_size: 512
    .name:           _ZL19rocblas_her2_kernelIlLi512EPK19rocblas_complex_numIdEPKS3_PKPS1_EvbimT1_T2_lT_lSA_lSB_lT3_lSB_li
    .private_segment_fixed_size: 0
    .sgpr_count:     31
    .sgpr_spill_count: 0
    .symbol:         _ZL19rocblas_her2_kernelIlLi512EPK19rocblas_complex_numIdEPKS3_PKPS1_EvbimT1_T2_lT_lSA_lSB_lT3_lSB_li.kd
    .uniform_work_group_size: 1
    .uses_dynamic_stack: false
    .vgpr_count:     42
    .vgpr_spill_count: 0
    .wavefront_size: 32
  - .args:
      - .offset:         0
        .size:           1
        .value_kind:     by_value
      - .offset:         4
        .size:           4
        .value_kind:     by_value
      - .offset:         8
        .size:           8
        .value_kind:     by_value
      - .offset:         16
        .size:           16
        .value_kind:     by_value
      - .address_space:  global
        .offset:         32
        .size:           8
        .value_kind:     global_buffer
      - .offset:         40
        .size:           8
        .value_kind:     by_value
      - .offset:         48
        .size:           8
        .value_kind:     by_value
      - .offset:         56
        .size:           8
        .value_kind:     by_value
      - .address_space:  global
        .offset:         64
        .size:           8
        .value_kind:     global_buffer
      - .offset:         72
        .size:           8
        .value_kind:     by_value
      - .offset:         80
        .size:           8
        .value_kind:     by_value
      - .offset:         88
        .size:           8
        .value_kind:     by_value
      - .address_space:  global
        .offset:         96
        .size:           8
        .value_kind:     global_buffer
      - .offset:         104
        .size:           8
        .value_kind:     by_value
      - .offset:         112
        .size:           8
        .value_kind:     by_value
      - .offset:         120
        .size:           8
        .value_kind:     by_value
      - .offset:         128
        .size:           4
        .value_kind:     by_value
      - .offset:         136
        .size:           4
        .value_kind:     hidden_block_count_x
      - .offset:         140
        .size:           4
        .value_kind:     hidden_block_count_y
      - .offset:         144
        .size:           4
        .value_kind:     hidden_block_count_z
      - .offset:         148
        .size:           2
        .value_kind:     hidden_group_size_x
      - .offset:         150
        .size:           2
        .value_kind:     hidden_group_size_y
      - .offset:         152
        .size:           2
        .value_kind:     hidden_group_size_z
      - .offset:         154
        .size:           2
        .value_kind:     hidden_remainder_x
      - .offset:         156
        .size:           2
        .value_kind:     hidden_remainder_y
      - .offset:         158
        .size:           2
        .value_kind:     hidden_remainder_z
      - .offset:         176
        .size:           8
        .value_kind:     hidden_global_offset_x
      - .offset:         184
        .size:           8
        .value_kind:     hidden_global_offset_y
      - .offset:         192
        .size:           8
        .value_kind:     hidden_global_offset_z
      - .offset:         200
        .size:           2
        .value_kind:     hidden_grid_dims
    .group_segment_fixed_size: 0
    .kernarg_segment_align: 8
    .kernarg_segment_size: 392
    .language:       OpenCL C
    .language_version:
      - 2
      - 0
    .max_flat_workgroup_size: 512
    .name:           _ZL19rocblas_her2_kernelIlLi512E19rocblas_complex_numIdEPKPKS1_PKPS1_EvbimT1_T2_lT_lSA_lSB_lT3_lSB_li
    .private_segment_fixed_size: 0
    .sgpr_count:     32
    .sgpr_spill_count: 0
    .symbol:         _ZL19rocblas_her2_kernelIlLi512E19rocblas_complex_numIdEPKPKS1_PKPS1_EvbimT1_T2_lT_lSA_lSB_lT3_lSB_li.kd
    .uniform_work_group_size: 1
    .uses_dynamic_stack: false
    .vgpr_count:     42
    .vgpr_spill_count: 0
    .wavefront_size: 32
amdhsa.target:   amdgcn-amd-amdhsa--gfx1250
amdhsa.version:
  - 1
  - 2
...

	.end_amdgpu_metadata
